;; amdgpu-corpus repo=ROCm/rocFFT kind=compiled arch=gfx950 opt=O3
	.text
	.amdgcn_target "amdgcn-amd-amdhsa--gfx950"
	.amdhsa_code_object_version 6
	.protected	fft_rtc_fwd_len3840_factors_10_6_2_2_2_2_2_2_wgs_128_tpt_128_halfLds_sp_op_CI_CI_unitstride_sbrr_R2C_dirReg ; -- Begin function fft_rtc_fwd_len3840_factors_10_6_2_2_2_2_2_2_wgs_128_tpt_128_halfLds_sp_op_CI_CI_unitstride_sbrr_R2C_dirReg
	.globl	fft_rtc_fwd_len3840_factors_10_6_2_2_2_2_2_2_wgs_128_tpt_128_halfLds_sp_op_CI_CI_unitstride_sbrr_R2C_dirReg
	.p2align	8
	.type	fft_rtc_fwd_len3840_factors_10_6_2_2_2_2_2_2_wgs_128_tpt_128_halfLds_sp_op_CI_CI_unitstride_sbrr_R2C_dirReg,@function
fft_rtc_fwd_len3840_factors_10_6_2_2_2_2_2_2_wgs_128_tpt_128_halfLds_sp_op_CI_CI_unitstride_sbrr_R2C_dirReg: ; @fft_rtc_fwd_len3840_factors_10_6_2_2_2_2_2_2_wgs_128_tpt_128_halfLds_sp_op_CI_CI_unitstride_sbrr_R2C_dirReg
; %bb.0:
	s_load_dwordx4 s[4:7], s[0:1], 0x58
	s_load_dwordx4 s[8:11], s[0:1], 0x0
	;; [unrolled: 1-line block ×3, first 2 shown]
	v_mov_b32_e32 v6, s2
	v_mov_b32_e32 v4, 0
	v_mov_b32_e32 v7, v4
	s_waitcnt lgkmcnt(0)
	v_cmp_lt_u64_e64 s[2:3], s[10:11], 2
	s_and_b64 vcc, exec, s[2:3]
	v_mov_b64_e32 v[2:3], 0
	s_cbranch_vccnz .LBB0_8
; %bb.1:
	s_load_dwordx2 s[2:3], s[0:1], 0x10
	s_add_u32 s16, s14, 8
	s_addc_u32 s17, s15, 0
	s_add_u32 s18, s12, 8
	s_addc_u32 s19, s13, 0
	s_waitcnt lgkmcnt(0)
	s_add_u32 s20, s2, 8
	v_mov_b64_e32 v[2:3], 0
	s_addc_u32 s21, s3, 0
	s_mov_b64 s[22:23], 1
	v_mov_b64_e32 v[62:63], v[2:3]
.LBB0_2:                                ; =>This Inner Loop Header: Depth=1
	s_load_dwordx2 s[24:25], s[20:21], 0x0
                                        ; implicit-def: $vgpr64_vgpr65
	s_waitcnt lgkmcnt(0)
	v_or_b32_e32 v5, s25, v7
	v_cmp_ne_u64_e32 vcc, 0, v[4:5]
	s_and_saveexec_b64 s[2:3], vcc
	s_xor_b64 s[26:27], exec, s[2:3]
	s_cbranch_execz .LBB0_4
; %bb.3:                                ;   in Loop: Header=BB0_2 Depth=1
	v_cvt_f32_u32_e32 v1, s24
	v_cvt_f32_u32_e32 v5, s25
	s_sub_u32 s2, 0, s24
	s_subb_u32 s3, 0, s25
	v_fmac_f32_e32 v1, 0x4f800000, v5
	v_rcp_f32_e32 v1, v1
	s_nop 0
	v_mul_f32_e32 v1, 0x5f7ffffc, v1
	v_mul_f32_e32 v5, 0x2f800000, v1
	v_trunc_f32_e32 v5, v5
	v_fmac_f32_e32 v1, 0xcf800000, v5
	v_cvt_u32_f32_e32 v5, v5
	v_cvt_u32_f32_e32 v1, v1
	v_mul_lo_u32 v8, s2, v5
	v_mul_hi_u32 v10, s2, v1
	v_mul_lo_u32 v9, s3, v1
	v_add_u32_e32 v10, v10, v8
	v_mul_lo_u32 v12, s2, v1
	v_add_u32_e32 v13, v10, v9
	v_mul_hi_u32 v8, v1, v12
	v_mul_hi_u32 v11, v1, v13
	v_mul_lo_u32 v10, v1, v13
	v_mov_b32_e32 v9, v4
	v_lshl_add_u64 v[8:9], v[8:9], 0, v[10:11]
	v_mul_hi_u32 v11, v5, v12
	v_mul_lo_u32 v12, v5, v12
	v_add_co_u32_e32 v8, vcc, v8, v12
	v_mul_hi_u32 v10, v5, v13
	s_nop 0
	v_addc_co_u32_e32 v8, vcc, v9, v11, vcc
	v_mov_b32_e32 v9, v4
	s_nop 0
	v_addc_co_u32_e32 v11, vcc, 0, v10, vcc
	v_mul_lo_u32 v10, v5, v13
	v_lshl_add_u64 v[8:9], v[8:9], 0, v[10:11]
	v_add_co_u32_e32 v1, vcc, v1, v8
	v_mul_lo_u32 v10, s2, v1
	s_nop 0
	v_addc_co_u32_e32 v5, vcc, v5, v9, vcc
	v_mul_lo_u32 v8, s2, v5
	v_mul_hi_u32 v9, s2, v1
	v_add_u32_e32 v8, v9, v8
	v_mul_lo_u32 v9, s3, v1
	v_add_u32_e32 v12, v8, v9
	v_mul_hi_u32 v14, v5, v10
	v_mul_lo_u32 v15, v5, v10
	v_mul_hi_u32 v9, v1, v12
	v_mul_lo_u32 v8, v1, v12
	v_mul_hi_u32 v10, v1, v10
	v_mov_b32_e32 v11, v4
	v_lshl_add_u64 v[8:9], v[10:11], 0, v[8:9]
	v_add_co_u32_e32 v8, vcc, v8, v15
	v_mul_hi_u32 v13, v5, v12
	s_nop 0
	v_addc_co_u32_e32 v8, vcc, v9, v14, vcc
	v_mul_lo_u32 v10, v5, v12
	s_nop 0
	v_addc_co_u32_e32 v11, vcc, 0, v13, vcc
	v_mov_b32_e32 v9, v4
	v_lshl_add_u64 v[8:9], v[8:9], 0, v[10:11]
	v_add_co_u32_e32 v1, vcc, v1, v8
	v_mul_hi_u32 v10, v6, v1
	s_nop 0
	v_addc_co_u32_e32 v5, vcc, v5, v9, vcc
	v_mad_u64_u32 v[8:9], s[2:3], v6, v5, 0
	v_mov_b32_e32 v11, v4
	v_lshl_add_u64 v[8:9], v[10:11], 0, v[8:9]
	v_mad_u64_u32 v[12:13], s[2:3], v7, v1, 0
	v_add_co_u32_e32 v1, vcc, v8, v12
	v_mad_u64_u32 v[10:11], s[2:3], v7, v5, 0
	s_nop 0
	v_addc_co_u32_e32 v8, vcc, v9, v13, vcc
	v_mov_b32_e32 v9, v4
	s_nop 0
	v_addc_co_u32_e32 v11, vcc, 0, v11, vcc
	v_lshl_add_u64 v[8:9], v[8:9], 0, v[10:11]
	v_mul_lo_u32 v1, s25, v8
	v_mul_lo_u32 v5, s24, v9
	v_mad_u64_u32 v[10:11], s[2:3], s24, v8, 0
	v_add3_u32 v1, v11, v5, v1
	v_sub_u32_e32 v5, v7, v1
	v_mov_b32_e32 v11, s25
	v_sub_co_u32_e32 v14, vcc, v6, v10
	v_lshl_add_u64 v[12:13], v[8:9], 0, 1
	s_nop 0
	v_subb_co_u32_e64 v5, s[2:3], v5, v11, vcc
	v_subrev_co_u32_e64 v10, s[2:3], s24, v14
	v_subb_co_u32_e32 v1, vcc, v7, v1, vcc
	s_nop 0
	v_subbrev_co_u32_e64 v5, s[2:3], 0, v5, s[2:3]
	v_cmp_le_u32_e64 s[2:3], s25, v5
	v_cmp_le_u32_e32 vcc, s25, v1
	s_nop 0
	v_cndmask_b32_e64 v11, 0, -1, s[2:3]
	v_cmp_le_u32_e64 s[2:3], s24, v10
	s_nop 1
	v_cndmask_b32_e64 v10, 0, -1, s[2:3]
	v_cmp_eq_u32_e64 s[2:3], s25, v5
	s_nop 1
	v_cndmask_b32_e64 v5, v11, v10, s[2:3]
	v_lshl_add_u64 v[10:11], v[8:9], 0, 2
	v_cmp_ne_u32_e64 s[2:3], 0, v5
	s_nop 1
	v_cndmask_b32_e64 v5, v13, v11, s[2:3]
	v_cndmask_b32_e64 v11, 0, -1, vcc
	v_cmp_le_u32_e32 vcc, s24, v14
	s_nop 1
	v_cndmask_b32_e64 v13, 0, -1, vcc
	v_cmp_eq_u32_e32 vcc, s25, v1
	s_nop 1
	v_cndmask_b32_e32 v1, v11, v13, vcc
	v_cmp_ne_u32_e32 vcc, 0, v1
	v_cndmask_b32_e64 v1, v12, v10, s[2:3]
	s_nop 0
	v_cndmask_b32_e32 v65, v9, v5, vcc
	v_cndmask_b32_e32 v64, v8, v1, vcc
.LBB0_4:                                ;   in Loop: Header=BB0_2 Depth=1
	s_andn2_saveexec_b64 s[2:3], s[26:27]
	s_cbranch_execz .LBB0_6
; %bb.5:                                ;   in Loop: Header=BB0_2 Depth=1
	v_cvt_f32_u32_e32 v1, s24
	s_sub_i32 s26, 0, s24
	v_mov_b32_e32 v65, v4
	v_rcp_iflag_f32_e32 v1, v1
	s_nop 0
	v_mul_f32_e32 v1, 0x4f7ffffe, v1
	v_cvt_u32_f32_e32 v1, v1
	v_mul_lo_u32 v5, s26, v1
	v_mul_hi_u32 v5, v1, v5
	v_add_u32_e32 v1, v1, v5
	v_mul_hi_u32 v1, v6, v1
	v_mul_lo_u32 v5, v1, s24
	v_sub_u32_e32 v5, v6, v5
	v_add_u32_e32 v8, 1, v1
	v_subrev_u32_e32 v9, s24, v5
	v_cmp_le_u32_e32 vcc, s24, v5
	s_nop 1
	v_cndmask_b32_e32 v5, v5, v9, vcc
	v_cndmask_b32_e32 v1, v1, v8, vcc
	v_add_u32_e32 v8, 1, v1
	v_cmp_le_u32_e32 vcc, s24, v5
	s_nop 1
	v_cndmask_b32_e32 v64, v1, v8, vcc
.LBB0_6:                                ;   in Loop: Header=BB0_2 Depth=1
	s_or_b64 exec, exec, s[2:3]
	v_mad_u64_u32 v[8:9], s[2:3], v64, s24, 0
	s_load_dwordx2 s[2:3], s[18:19], 0x0
	v_mul_lo_u32 v1, v65, s24
	v_mul_lo_u32 v5, v64, s25
	s_load_dwordx2 s[24:25], s[16:17], 0x0
	s_add_u32 s22, s22, 1
	v_add3_u32 v1, v9, v5, v1
	v_sub_co_u32_e32 v5, vcc, v6, v8
	s_addc_u32 s23, s23, 0
	s_nop 0
	v_subb_co_u32_e32 v1, vcc, v7, v1, vcc
	s_add_u32 s16, s16, 8
	s_waitcnt lgkmcnt(0)
	v_mul_lo_u32 v6, s2, v1
	v_mul_lo_u32 v7, s3, v5
	v_mad_u64_u32 v[2:3], s[2:3], s2, v5, v[2:3]
	s_addc_u32 s17, s17, 0
	v_add3_u32 v3, v7, v3, v6
	v_mul_lo_u32 v1, s24, v1
	v_mul_lo_u32 v6, s25, v5
	v_mad_u64_u32 v[62:63], s[2:3], s24, v5, v[62:63]
	s_add_u32 s18, s18, 8
	v_add3_u32 v63, v6, v63, v1
	s_addc_u32 s19, s19, 0
	v_mov_b64_e32 v[6:7], s[10:11]
	s_add_u32 s20, s20, 8
	v_cmp_ge_u64_e32 vcc, s[22:23], v[6:7]
	s_addc_u32 s21, s21, 0
	s_cbranch_vccnz .LBB0_9
; %bb.7:                                ;   in Loop: Header=BB0_2 Depth=1
	v_mov_b64_e32 v[6:7], v[64:65]
	s_branch .LBB0_2
.LBB0_8:
	v_mov_b64_e32 v[62:63], v[2:3]
	v_mov_b64_e32 v[64:65], v[6:7]
.LBB0_9:
	s_load_dwordx2 s[0:1], s[0:1], 0x28
	s_lshl_b64 s[10:11], s[10:11], 3
	s_add_u32 s2, s14, s10
	s_addc_u32 s3, s15, s11
                                        ; implicit-def: $vgpr102_vgpr103
                                        ; implicit-def: $vgpr100_vgpr101
                                        ; implicit-def: $vgpr98_vgpr99
                                        ; implicit-def: $vgpr94_vgpr95
                                        ; implicit-def: $vgpr96_vgpr97
                                        ; implicit-def: $vgpr92
                                        ; implicit-def: $vgpr88
                                        ; implicit-def: $vgpr68
                                        ; implicit-def: $vgpr66
                                        ; implicit-def: $vgpr90_vgpr91
                                        ; implicit-def: $vgpr86_vgpr87
                                        ; implicit-def: $vgpr84_vgpr85
                                        ; implicit-def: $vgpr82_vgpr83
                                        ; implicit-def: $vgpr80_vgpr81
                                        ; implicit-def: $vgpr78_vgpr79
                                        ; implicit-def: $vgpr76_vgpr77
                                        ; implicit-def: $vgpr74_vgpr75
                                        ; implicit-def: $vgpr72_vgpr73
                                        ; implicit-def: $vgpr70_vgpr71
	s_waitcnt lgkmcnt(0)
	v_cmp_gt_u64_e32 vcc, s[0:1], v[64:65]
	v_cmp_le_u64_e64 s[0:1], s[0:1], v[64:65]
	s_and_saveexec_b64 s[14:15], s[0:1]
	s_xor_b64 s[0:1], exec, s[14:15]
	s_cbranch_execz .LBB0_11
; %bb.10:
	v_or_b32_e32 v97, 0x180, v0
	v_or_b32_e32 v96, 0x200, v0
	;; [unrolled: 1-line block ×10, first 2 shown]
	v_mov_b32_e32 v1, 0
	v_or_b32_e32 v92, 0x80, v0
	v_or_b32_e32 v88, 0x100, v0
	;; [unrolled: 1-line block ×4, first 2 shown]
	v_mov_b32_e32 v93, v1
	v_mov_b32_e32 v89, v1
	;; [unrolled: 1-line block ×24, first 2 shown]
                                        ; implicit-def: $vgpr2_vgpr3
.LBB0_11:
	s_andn2_saveexec_b64 s[0:1], s[0:1]
	s_cbranch_execz .LBB0_13
; %bb.12:
	s_add_u32 s10, s12, s10
	s_addc_u32 s11, s13, s11
	s_load_dwordx2 s[10:11], s[10:11], 0x0
	v_mov_b32_e32 v1, 0
	v_or_b32_e32 v97, 0x180, v0
	v_lshlrev_b32_e32 v12, 3, v97
	v_mov_b32_e32 v13, v1
	s_waitcnt lgkmcnt(0)
	v_mul_lo_u32 v6, s11, v64
	v_mul_lo_u32 v7, s10, v65
	v_mad_u64_u32 v[4:5], s[10:11], s10, v64, 0
	v_add3_u32 v5, v5, v7, v6
	v_lshl_add_u64 v[4:5], v[4:5], 3, s[4:5]
	v_lshl_add_u64 v[4:5], v[2:3], 3, v[4:5]
	v_lshlrev_b32_e32 v2, 3, v0
	v_mov_b32_e32 v3, v1
	v_lshl_add_u64 v[16:17], v[4:5], 0, v[2:3]
	v_lshl_add_u64 v[18:19], v[4:5], 0, v[12:13]
	v_or_b32_e32 v68, 0x280, v0
	v_or_b32_e32 v96, 0x200, v0
	global_load_dwordx2 v[8:9], v[16:17], off
	global_load_dwordx2 v[10:11], v[16:17], off offset:1024
	global_load_dwordx2 v[6:7], v[16:17], off offset:2048
	global_load_dwordx2 v[14:15], v[18:19], off
	v_lshlrev_b32_e32 v18, 3, v68
	v_mov_b32_e32 v19, v1
	v_or_b32_e32 v95, 0x380, v0
	v_or_b32_e32 v94, 0x300, v0
	v_lshlrev_b32_e32 v16, 3, v96
	v_mov_b32_e32 v17, v1
	v_lshl_add_u64 v[32:33], v[4:5], 0, v[18:19]
	v_lshlrev_b32_e32 v18, 3, v94
	v_lshlrev_b32_e32 v26, 3, v95
	v_mov_b32_e32 v27, v1
	v_lshl_add_u64 v[30:31], v[4:5], 0, v[16:17]
	v_lshl_add_u64 v[34:35], v[4:5], 0, v[18:19]
	;; [unrolled: 1-line block ×3, first 2 shown]
	v_or_b32_e32 v66, 0x700, v0
	global_load_dwordx2 v[20:21], v[30:31], off
	global_load_dwordx2 v[22:23], v[32:33], off
	;; [unrolled: 1-line block ×4, first 2 shown]
	v_lshlrev_b32_e32 v34, 3, v66
	v_mov_b32_e32 v35, v1
	v_or_b32_e32 v36, 0x4000, v2
	v_mov_b32_e32 v37, v1
	v_lshl_add_u64 v[34:35], v[4:5], 0, v[34:35]
	v_lshl_add_u64 v[36:37], v[4:5], 0, v[36:37]
	v_or_b32_e32 v38, 0x4400, v2
	v_mov_b32_e32 v39, v1
	v_or_b32_e32 v40, 0x4800, v2
	v_mov_b32_e32 v41, v1
	;; [unrolled: 2-line block ×3, first 2 shown]
	global_load_dwordx2 v[34:35], v[34:35], off
	v_lshl_add_u64 v[38:39], v[4:5], 0, v[38:39]
	v_lshl_add_u64 v[40:41], v[4:5], 0, v[40:41]
	;; [unrolled: 1-line block ×3, first 2 shown]
	global_load_dwordx2 v[44:45], v[36:37], off
	global_load_dwordx2 v[46:47], v[38:39], off
	;; [unrolled: 1-line block ×4, first 2 shown]
	v_or_b32_e32 v36, 0x5000, v2
	v_mov_b32_e32 v37, v1
	v_or_b32_e32 v98, 0x400, v0
	v_lshl_add_u64 v[36:37], v[4:5], 0, v[36:37]
	v_or_b32_e32 v38, 0x5400, v2
	v_mov_b32_e32 v39, v1
	v_or_b32_e32 v40, 0x5800, v2
	v_mov_b32_e32 v41, v1
	v_or_b32_e32 v99, 0x480, v0
	v_or_b32_e32 v101, 0x580, v0
	v_lshlrev_b32_e32 v30, 3, v98
	v_mov_b32_e32 v31, v1
	v_lshl_add_u64 v[38:39], v[4:5], 0, v[38:39]
	v_lshl_add_u64 v[40:41], v[4:5], 0, v[40:41]
	global_load_dwordx2 v[42:43], v[36:37], off
	global_load_dwordx2 v[52:53], v[38:39], off
	;; [unrolled: 1-line block ×3, first 2 shown]
	v_lshlrev_b32_e32 v36, 3, v99
	v_mov_b32_e32 v37, v1
	v_or_b32_e32 v100, 0x500, v0
	v_lshlrev_b32_e32 v58, 3, v101
	v_mov_b32_e32 v59, v1
	v_lshl_add_u64 v[32:33], v[4:5], 0, v[30:31]
	v_lshl_add_u64 v[38:39], v[4:5], 0, v[36:37]
	v_lshlrev_b32_e32 v40, 3, v100
	v_mov_b32_e32 v41, v1
	v_lshl_add_u64 v[60:61], v[4:5], 0, v[58:59]
	v_or_b32_e32 v102, 0x600, v0
	v_lshl_add_u64 v[56:57], v[4:5], 0, v[40:41]
	global_load_dwordx2 v[32:33], v[32:33], off
	s_nop 0
	global_load_dwordx2 v[70:71], v[38:39], off
	global_load_dwordx2 v[72:73], v[56:57], off
	;; [unrolled: 1-line block ×3, first 2 shown]
	v_lshlrev_b32_e32 v38, 3, v102
	v_mov_b32_e32 v39, v1
	v_or_b32_e32 v60, 0x3c00, v2
	v_mov_b32_e32 v61, v1
	v_or_b32_e32 v106, 0x5c00, v2
	;; [unrolled: 2-line block ×3, first 2 shown]
	v_lshl_add_u64 v[56:57], v[4:5], 0, v[38:39]
	v_lshl_add_u64 v[76:77], v[4:5], 0, v[60:61]
	;; [unrolled: 1-line block ×3, first 2 shown]
	global_load_dwordx2 v[104:105], v[76:77], off
	global_load_dwordx2 v[108:109], v[78:79], off
	v_or_b32_e32 v78, 0x6000, v2
	global_load_dwordx2 v[56:57], v[56:57], off
	v_lshlrev_b32_e32 v76, 3, v103
	v_mov_b32_e32 v77, v1
	v_lshl_add_u64 v[86:87], v[4:5], 0, v[76:77]
	v_mov_b32_e32 v79, v1
	global_load_dwordx2 v[110:111], v[86:87], off
	v_lshl_add_u64 v[78:79], v[4:5], 0, v[78:79]
	v_or_b32_e32 v80, 0x6400, v2
	v_mov_b32_e32 v81, v1
	v_or_b32_e32 v82, 0x6800, v2
	v_mov_b32_e32 v83, v1
	;; [unrolled: 2-line block ×5, first 2 shown]
	v_lshl_add_u64 v[80:81], v[4:5], 0, v[80:81]
	v_lshl_add_u64 v[82:83], v[4:5], 0, v[82:83]
	;; [unrolled: 1-line block ×5, first 2 shown]
	global_load_dwordx2 v[112:113], v[78:79], off
	global_load_dwordx2 v[114:115], v[80:81], off
	;; [unrolled: 1-line block ×6, first 2 shown]
	v_add_u32_e32 v3, 0, v12
	v_add_u32_e32 v2, 0, v2
	;; [unrolled: 1-line block ×6, first 2 shown]
	s_waitcnt vmcnt(28)
	ds_write2st64_b64 v2, v[8:9], v[10:11] offset1:2
	s_waitcnt vmcnt(26)
	ds_write_b64 v3, v[14:15]
	s_waitcnt vmcnt(25)
	ds_write_b64 v4, v[20:21]
	s_waitcnt vmcnt(24)
	ds_write2st64_b64 v2, v[6:7], v[22:23] offset0:4 offset1:10
	s_waitcnt vmcnt(23)
	ds_write_b64 v5, v[24:25]
	s_waitcnt vmcnt(22)
	ds_write_b64 v12, v[28:29]
	s_waitcnt vmcnt(13)
	ds_write_b64 v13, v[32:33]
	ds_write2st64_b64 v2, v[34:35], v[44:45] offset0:28 offset1:32
	ds_write2st64_b64 v2, v[46:47], v[48:49] offset0:34 offset1:36
	ds_write2st64_b64 v2, v[50:51], v[42:43] offset0:38 offset1:40
	ds_write2st64_b64 v2, v[52:53], v[54:55] offset0:42 offset1:44
	v_add_u32_e32 v3, 0, v36
	v_or_b32_e32 v92, 0x80, v0
	v_mov_b32_e32 v93, v1
	v_or_b32_e32 v88, 0x100, v0
	s_waitcnt vmcnt(12)
	ds_write_b64 v3, v[70:71]
	v_add_u32_e32 v3, 0, v40
	s_waitcnt vmcnt(11)
	ds_write_b64 v3, v[72:73]
	v_add_u32_e32 v3, 0, v58
	;; [unrolled: 3-line block ×3, first 2 shown]
	v_mov_b32_e32 v90, v97
	v_mov_b32_e32 v91, v1
	;; [unrolled: 1-line block ×10, first 2 shown]
	s_waitcnt vmcnt(7)
	ds_write_b64 v3, v[56:57]
	v_add_u32_e32 v3, 0, v76
	v_mov_b32_e32 v81, v1
	v_mov_b32_e32 v78, v99
	;; [unrolled: 1-line block ×3, first 2 shown]
	s_waitcnt vmcnt(6)
	ds_write_b64 v3, v[110:111]
	v_add_u32_e32 v3, 0, v60
	v_mov_b32_e32 v76, v100
	v_mov_b32_e32 v74, v101
	;; [unrolled: 1-line block ×5, first 2 shown]
	ds_write_b64 v3, v[104:105]
	v_mov_b32_e32 v70, v103
	v_mov_b32_e32 v71, v1
	;; [unrolled: 1-line block ×3, first 2 shown]
	v_add_u32_e32 v3, 0, v106
	ds_write_b64 v3, v[108:109]
	s_waitcnt vmcnt(4)
	ds_write2st64_b64 v2, v[112:113], v[114:115] offset0:48 offset1:50
	s_waitcnt vmcnt(2)
	ds_write2st64_b64 v2, v[116:117], v[118:119] offset0:52 offset1:54
	;; [unrolled: 2-line block ×3, first 2 shown]
.LBB0_13:
	s_or_b64 exec, exec, s[0:1]
	v_lshlrev_b32_e32 v105, 3, v0
	v_add_u32_e32 v104, 0, v105
	s_load_dwordx2 s[2:3], s[2:3], 0x0
	s_waitcnt lgkmcnt(0)
	s_barrier
	ds_read2st64_b64 v[18:21], v104 offset0:12 offset1:14
	ds_read2st64_b64 v[22:25], v104 offset0:24 offset1:26
	;; [unrolled: 1-line block ×8, first 2 shown]
	s_mov_b32 s10, 0x3f737871
	s_waitcnt lgkmcnt(6)
	v_pk_add_f32 v[2:3], v[22:23], v[18:19] neg_lo:[0,1] neg_hi:[0,1]
	s_waitcnt lgkmcnt(2)
	v_pk_add_f32 v[8:9], v[48:49], v[40:41] neg_lo:[0,1] neg_hi:[0,1]
	v_pk_add_f32 v[4:5], v[10:11], v[14:15] neg_lo:[0,1] neg_hi:[0,1]
	s_waitcnt lgkmcnt(0)
	v_pk_add_f32 v[26:27], v[56:57], v[60:61] neg_lo:[0,1] neg_hi:[0,1]
	v_pk_add_f32 v[6:7], v[2:3], v[4:5]
	ds_read2st64_b64 v[2:5], v104 offset0:4 offset1:6
	v_pk_add_f32 v[8:9], v[8:9], v[26:27]
	v_pk_add_f32 v[26:27], v[40:41], v[60:61]
	v_pk_add_f32 v[106:107], v[48:49], v[56:57] neg_lo:[0,1] neg_hi:[0,1]
	s_mov_b32 s4, 0x3f167918
	s_waitcnt lgkmcnt(0)
	v_pk_fma_f32 v[26:27], v[26:27], 0.5, v[4:5] op_sel_hi:[1,0,1] neg_lo:[1,0,0] neg_hi:[1,0,0]
	v_pk_mul_f32 v[28:29], v[106:107], s[10:11] op_sel_hi:[1,0]
	v_pk_add_f32 v[108:109], v[40:41], v[60:61] neg_lo:[0,1] neg_hi:[0,1]
	v_pk_add_f32 v[30:31], v[26:27], v[28:29] op_sel:[0,1] op_sel_hi:[1,0] neg_lo:[0,1] neg_hi:[0,1]
	v_pk_add_f32 v[26:27], v[26:27], v[28:29] op_sel:[0,1] op_sel_hi:[1,0]
	v_pk_mul_f32 v[28:29], v[108:109], s[4:5] op_sel_hi:[1,0]
	s_mov_b32 s0, 0x3e9e377a
	v_pk_add_f32 v[32:33], v[26:27], v[28:29] op_sel:[0,1] op_sel_hi:[1,0] neg_lo:[0,1] neg_hi:[0,1]
	v_pk_add_f32 v[30:31], v[30:31], v[28:29] op_sel:[0,1] op_sel_hi:[1,0]
	v_mov_b32_e32 v27, v33
	v_mov_b32_e32 v26, v30
	v_pk_fma_f32 v[34:35], v[8:9], s[0:1], v[26:27] op_sel_hi:[1,0,1]
	ds_read2st64_b64 v[26:29], v104 offset1:2
	v_pk_mul_f32 v[36:37], v[34:35], s[10:11] op_sel_hi:[1,0]
	v_pk_add_f32 v[112:113], v[22:23], v[10:11] neg_lo:[0,1] neg_hi:[0,1]
	v_pk_fma_f32 v[110:111], v[34:35], s[0:1], v[36:37] op_sel:[0,0,1] op_sel_hi:[1,0,0]
	v_pk_fma_f32 v[34:35], v[34:35], s[0:1], v[36:37] op_sel:[0,0,1] op_sel_hi:[1,0,0] neg_lo:[0,0,1] neg_hi:[0,0,1]
	v_pk_mul_f32 v[36:37], v[112:113], s[10:11] op_sel_hi:[1,0]
	v_mov_b32_e32 v111, v35
	v_pk_add_f32 v[34:35], v[18:19], v[14:15]
	v_pk_add_f32 v[114:115], v[18:19], v[14:15] neg_lo:[0,1] neg_hi:[0,1]
	s_waitcnt lgkmcnt(0)
	v_pk_fma_f32 v[34:35], v[34:35], 0.5, v[26:27] op_sel_hi:[1,0,1] neg_lo:[1,0,0] neg_hi:[1,0,0]
	v_mov_b32_e32 v33, v31
	v_pk_add_f32 v[42:43], v[34:35], v[36:37] op_sel:[0,1] op_sel_hi:[1,0] neg_lo:[0,1] neg_hi:[0,1]
	v_pk_add_f32 v[34:35], v[34:35], v[36:37] op_sel:[0,1] op_sel_hi:[1,0]
	v_pk_mul_f32 v[36:37], v[114:115], s[4:5] op_sel_hi:[1,0]
	v_pk_fma_f32 v[8:9], v[8:9], s[0:1], v[32:33] op_sel_hi:[1,0,1]
	v_pk_add_f32 v[34:35], v[34:35], v[36:37] op_sel:[0,1] op_sel_hi:[1,0] neg_lo:[0,1] neg_hi:[0,1]
	v_pk_add_f32 v[36:37], v[42:43], v[36:37] op_sel:[0,1] op_sel_hi:[1,0]
	s_mov_b32 s12, 0xbf737871
	s_mov_b32 s13, s10
	v_pk_mul_f32 v[30:31], v[8:9], s[0:1] op_sel_hi:[1,0]
	v_pk_mul_f32 v[114:115], v[114:115], s[10:11] op_sel_hi:[1,0]
	v_pk_fma_f32 v[116:117], v[8:9], s[12:13], v[30:31] op_sel:[0,0,1] op_sel_hi:[1,1,0] neg_lo:[0,0,1] neg_hi:[0,0,1]
	v_mov_b32_e32 v8, v36
	v_mov_b32_e32 v9, v35
	;; [unrolled: 1-line block ×3, first 2 shown]
	v_pk_fma_f32 v[118:119], v[6:7], s[0:1], v[8:9] op_sel_hi:[1,0,1]
	v_pk_fma_f32 v[120:121], v[6:7], s[0:1], v[34:35] op_sel_hi:[1,0,1]
	s_movk_i32 s1, 0x48
	v_mad_u32_u24 v130, v0, s1, v104
	v_pk_add_f32 v[122:123], v[118:119], v[110:111]
	v_pk_add_f32 v[124:125], v[120:121], v[116:117] op_sel:[0,1] op_sel_hi:[1,0]
	ds_read2st64_b64 v[6:9], v104 offset0:8 offset1:10
	ds_read2st64_b64 v[50:53], v104 offset0:20 offset1:22
	ds_read2st64_b64 v[42:45], v104 offset0:32 offset1:34
	ds_read2st64_b64 v[34:37], v104 offset0:44 offset1:46
	ds_read2st64_b64 v[30:33], v104 offset0:56 offset1:58
	s_waitcnt lgkmcnt(0)
	s_barrier
	ds_write2_b64 v130, v[122:123], v[124:125] offset0:2 offset1:3
	v_pk_add_f32 v[122:123], v[18:19], v[22:23] neg_lo:[0,1] neg_hi:[0,1]
	v_pk_add_f32 v[124:125], v[14:15], v[10:11] neg_lo:[0,1] neg_hi:[0,1]
	v_pk_mul_f32 v[112:113], v[112:113], s[4:5] op_sel_hi:[1,0]
	v_pk_add_f32 v[122:123], v[122:123], v[124:125]
	v_pk_add_f32 v[124:125], v[22:23], v[10:11]
	v_pk_mul_f32 v[108:109], v[108:109], s[10:11] op_sel_hi:[1,0]
	v_pk_fma_f32 v[124:125], v[124:125], 0.5, v[26:27] op_sel_hi:[1,0,1] neg_lo:[1,0,0] neg_hi:[1,0,0]
	v_pk_mul_f32 v[106:107], v[106:107], s[4:5] op_sel_hi:[1,0]
	v_pk_add_f32 v[126:127], v[124:125], v[114:115] op_sel:[0,1] op_sel_hi:[1,0]
	v_pk_add_f32 v[114:115], v[124:125], v[114:115] op_sel:[0,1] op_sel_hi:[1,0] neg_lo:[0,1] neg_hi:[0,1]
	v_pk_add_f32 v[124:125], v[40:41], v[48:49] neg_lo:[0,1] neg_hi:[0,1]
	v_pk_add_f32 v[114:115], v[114:115], v[112:113] op_sel:[0,1] op_sel_hi:[1,0] neg_lo:[0,1] neg_hi:[0,1]
	v_pk_add_f32 v[112:113], v[126:127], v[112:113] op_sel:[0,1] op_sel_hi:[1,0]
	v_pk_add_f32 v[126:127], v[60:61], v[56:57] neg_lo:[0,1] neg_hi:[0,1]
	s_mov_b32 s14, 0x3f4f1bbd
	v_pk_add_f32 v[124:125], v[124:125], v[126:127]
	v_pk_add_f32 v[126:127], v[48:49], v[56:57]
	v_pk_add_f32 v[18:19], v[26:27], v[18:19]
	v_pk_fma_f32 v[126:127], v[126:127], 0.5, v[4:5] op_sel_hi:[1,0,1] neg_lo:[1,0,0] neg_hi:[1,0,0]
	v_pk_add_f32 v[18:19], v[18:19], v[22:23]
	v_pk_add_f32 v[128:129], v[126:127], v[108:109] op_sel:[0,1] op_sel_hi:[1,0]
	v_pk_add_f32 v[108:109], v[126:127], v[108:109] op_sel:[0,1] op_sel_hi:[1,0] neg_lo:[0,1] neg_hi:[0,1]
	v_pk_add_f32 v[126:127], v[106:107], v[128:129] op_sel:[1,0] op_sel_hi:[0,1]
	v_pk_add_f32 v[106:107], v[108:109], v[106:107] op_sel:[0,1] op_sel_hi:[1,0] neg_lo:[0,1] neg_hi:[0,1]
	v_pk_add_f32 v[4:5], v[4:5], v[40:41]
	v_pk_fma_f32 v[108:109], v[124:125], s[0:1], v[106:107] op_sel_hi:[1,0,1]
	v_mov_b32_e32 v107, v127
	v_pk_fma_f32 v[106:107], v[124:125], s[0:1], v[106:107] op_sel_hi:[1,0,1]
	v_pk_fma_f32 v[126:127], v[124:125], s[0:1], v[126:127] op_sel_hi:[1,0,1]
	v_pk_mul_f32 v[124:125], v[106:107], s[14:15] op_sel_hi:[1,0]
	s_mov_b32 s15, s4
	v_pk_mul_f32 v[126:127], v[126:127], s[14:15] op_sel_hi:[0,1]
	s_mov_b32 s5, s14
	v_pk_add_f32 v[10:11], v[18:19], v[10:11]
	v_pk_add_f32 v[4:5], v[4:5], v[48:49]
	v_pk_fma_f32 v[128:129], v[108:109], s[4:5], v[126:127] op_sel:[1,0,0]
	v_pk_fma_f32 v[108:109], v[108:109], s[4:5], v[126:127] op_sel:[1,0,0] neg_lo:[0,0,1] neg_hi:[0,0,1]
	v_pk_add_f32 v[10:11], v[10:11], v[14:15]
	v_pk_add_f32 v[4:5], v[4:5], v[56:57]
	v_mov_b32_e32 v14, v112
	v_mov_b32_e32 v15, v115
	;; [unrolled: 1-line block ×3, first 2 shown]
	v_pk_add_f32 v[4:5], v[4:5], v[60:61]
	v_pk_fma_f32 v[14:15], v[122:123], s[0:1], v[14:15] op_sel_hi:[1,0,1]
	v_pk_add_f32 v[18:19], v[10:11], v[4:5]
	v_pk_add_f32 v[22:23], v[14:15], v[128:129]
	v_mov_b32_e32 v115, v113
	s_mov_b32 s16, 0xbf167918
	s_mov_b32 s17, s4
	ds_write2_b64 v130, v[18:19], v[22:23] offset1:1
	v_pk_fma_f32 v[18:19], v[122:123], s[0:1], v[114:115] op_sel_hi:[1,0,1]
	v_pk_fma_f32 v[22:23], v[106:107], s[16:17], v[124:125] op_sel:[0,0,1] op_sel_hi:[1,1,0] neg_lo:[0,0,1] neg_hi:[0,0,1]
	v_pk_add_f32 v[4:5], v[10:11], v[4:5] neg_lo:[0,1] neg_hi:[0,1]
	v_pk_add_f32 v[10:11], v[18:19], v[22:23] op_sel:[1,0] op_sel_hi:[0,1]
	v_mov_b32_e32 v26, v11
	v_mov_b32_e32 v27, v10
	ds_write2_b64 v130, v[26:27], v[4:5] offset0:4 offset1:5
	v_pk_add_f32 v[4:5], v[14:15], v[128:129] neg_lo:[0,1] neg_hi:[0,1]
	v_pk_add_f32 v[10:11], v[118:119], v[110:111] neg_lo:[0,1] neg_hi:[0,1]
	ds_write2_b64 v130, v[4:5], v[10:11] offset0:6 offset1:7
	v_pk_add_f32 v[10:11], v[18:19], v[22:23] op_sel:[1,0] op_sel_hi:[0,1] neg_lo:[0,1] neg_hi:[0,1]
	v_pk_add_f32 v[4:5], v[120:121], v[116:117] op_sel:[0,1] op_sel_hi:[1,0] neg_lo:[0,1] neg_hi:[0,1]
	v_mov_b32_e32 v14, v11
	v_mov_b32_e32 v15, v10
	ds_write2_b64 v130, v[4:5], v[14:15] offset0:8 offset1:9
	v_pk_add_f32 v[4:5], v[2:3], v[38:39]
	v_pk_add_f32 v[48:49], v[28:29], v[20:21]
	;; [unrolled: 1-line block ×7, first 2 shown]
	v_pk_add_f32 v[14:15], v[46:47], v[54:55] neg_lo:[0,1] neg_hi:[0,1]
	v_pk_add_f32 v[18:19], v[38:39], v[46:47] neg_lo:[0,1] neg_hi:[0,1]
	;; [unrolled: 1-line block ×4, first 2 shown]
	v_pk_add_f32 v[38:39], v[38:39], v[58:59]
	v_pk_add_f32 v[40:41], v[58:59], v[54:55] neg_lo:[0,1] neg_hi:[0,1]
	v_pk_add_f32 v[46:47], v[54:55], v[58:59] neg_lo:[0,1] neg_hi:[0,1]
	v_pk_add_f32 v[4:5], v[4:5], v[58:59]
	v_pk_add_f32 v[54:55], v[24:25], v[12:13]
	v_pk_add_f32 v[56:57], v[24:25], v[12:13] neg_lo:[0,1] neg_hi:[0,1]
	v_pk_add_f32 v[58:59], v[20:21], v[24:25] neg_lo:[0,1] neg_hi:[0,1]
	v_pk_add_f32 v[24:25], v[24:25], v[20:21] neg_lo:[0,1] neg_hi:[0,1]
	v_pk_add_f32 v[60:61], v[20:21], v[16:17] neg_lo:[0,1] neg_hi:[0,1]
	v_pk_add_f32 v[20:21], v[20:21], v[16:17]
	v_pk_add_f32 v[106:107], v[16:17], v[12:13] neg_lo:[0,1] neg_hi:[0,1]
	v_pk_add_f32 v[12:13], v[12:13], v[16:17] neg_lo:[0,1] neg_hi:[0,1]
	v_pk_add_f32 v[16:17], v[48:49], v[16:17]
	v_pk_add_f32 v[48:49], v[8:9], v[52:53]
	;; [unrolled: 1-line block ×3, first 2 shown]
	v_pk_add_f32 v[116:117], v[52:53], v[32:33] neg_lo:[0,1] neg_hi:[0,1]
	v_pk_add_f32 v[118:119], v[52:53], v[32:33]
	v_pk_add_f32 v[120:121], v[44:45], v[52:53] neg_lo:[0,1] neg_hi:[0,1]
	v_pk_add_f32 v[122:123], v[52:53], v[44:45] neg_lo:[0,1] neg_hi:[0,1]
	v_pk_add_f32 v[48:49], v[48:49], v[44:45]
	v_pk_add_f32 v[52:53], v[108:109], v[42:43]
	v_pk_add_f32 v[112:113], v[50:51], v[30:31]
	v_pk_add_f32 v[108:109], v[42:43], v[34:35] neg_lo:[0,1] neg_hi:[0,1]
	v_pk_add_f32 v[48:49], v[48:49], v[36:37]
	v_pk_add_f32 v[52:53], v[52:53], v[34:35]
	v_pk_add_f32 v[110:111], v[50:51], v[30:31] neg_lo:[0,1] neg_hi:[0,1]
	v_pk_add_f32 v[114:115], v[42:43], v[50:51] neg_lo:[0,1] neg_hi:[0,1]
	;; [unrolled: 1-line block ×3, first 2 shown]
	v_pk_add_f32 v[42:43], v[42:43], v[34:35]
	v_pk_add_f32 v[124:125], v[44:45], v[36:37] neg_lo:[0,1] neg_hi:[0,1]
	v_pk_add_f32 v[44:45], v[44:45], v[36:37]
	v_pk_add_f32 v[126:127], v[34:35], v[30:31] neg_lo:[0,1] neg_hi:[0,1]
	v_pk_add_f32 v[34:35], v[30:31], v[34:35] neg_lo:[0,1] neg_hi:[0,1]
	;; [unrolled: 1-line block ×4, first 2 shown]
	v_pk_add_f32 v[32:33], v[48:49], v[32:33]
	v_pk_add_f32 v[30:31], v[52:53], v[30:31]
	v_pk_fma_f32 v[48:49], v[54:55], 0.5, v[28:29] op_sel_hi:[1,0,1] neg_lo:[1,0,0] neg_hi:[1,0,0]
	v_pk_fma_f32 v[20:21], v[20:21], 0.5, v[28:29] op_sel_hi:[1,0,1] neg_lo:[1,0,0] neg_hi:[1,0,0]
	;; [unrolled: 1-line block ×3, first 2 shown]
	v_pk_mul_f32 v[52:53], v[108:109], s[10:11] op_sel_hi:[1,0]
	v_pk_add_f32 v[12:13], v[24:25], v[12:13]
	v_pk_add_f32 v[54:55], v[28:29], v[52:53] op_sel:[0,1] op_sel_hi:[1,0] neg_lo:[0,1] neg_hi:[0,1]
	v_pk_add_f32 v[28:29], v[28:29], v[52:53] op_sel:[0,1] op_sel_hi:[1,0]
	v_pk_mul_f32 v[52:53], v[110:111], s[4:5] op_sel_hi:[1,0]
	v_pk_add_f32 v[24:25], v[114:115], v[126:127]
	v_pk_add_f32 v[28:29], v[28:29], v[52:53] op_sel:[0,1] op_sel_hi:[1,0] neg_lo:[0,1] neg_hi:[0,1]
	v_pk_add_f32 v[52:53], v[54:55], v[52:53] op_sel:[0,1] op_sel_hi:[1,0]
	v_mov_b32_e32 v55, v29
	v_mov_b32_e32 v54, v52
	v_pk_fma_f32 v[54:55], v[24:25], s[0:1], v[54:55] op_sel_hi:[1,0,1]
	v_mov_b32_e32 v29, v53
	v_pk_mul_f32 v[112:113], v[54:55], s[10:11] op_sel_hi:[1,0]
	v_pk_fma_f32 v[24:25], v[24:25], s[0:1], v[28:29] op_sel_hi:[1,0,1]
	v_pk_fma_f32 v[114:115], v[54:55], s[0:1], v[112:113] op_sel:[0,0,1] op_sel_hi:[1,0,0]
	v_pk_fma_f32 v[54:55], v[54:55], s[0:1], v[112:113] op_sel:[0,0,1] op_sel_hi:[1,0,0] neg_lo:[0,0,1] neg_hi:[0,0,1]
	v_pk_mul_f32 v[28:29], v[24:25], s[0:1] op_sel_hi:[1,0]
	v_mov_b32_e32 v115, v55
	v_pk_mul_f32 v[54:55], v[56:57], s[10:11] op_sel_hi:[1,0]
	v_pk_fma_f32 v[24:25], v[24:25], s[12:13], v[28:29] op_sel:[0,0,1] op_sel_hi:[1,1,0] neg_lo:[0,0,1] neg_hi:[0,0,1]
	v_pk_add_f32 v[112:113], v[20:21], v[54:55] op_sel:[0,1] op_sel_hi:[1,0] neg_lo:[0,1] neg_hi:[0,1]
	v_pk_add_f32 v[20:21], v[20:21], v[54:55] op_sel:[0,1] op_sel_hi:[1,0]
	v_pk_mul_f32 v[54:55], v[60:61], s[4:5] op_sel_hi:[1,0]
	v_pk_fma_f32 v[6:7], v[42:43], 0.5, v[6:7] op_sel_hi:[1,0,1] neg_lo:[1,0,0] neg_hi:[1,0,0]
	v_pk_add_f32 v[20:21], v[20:21], v[54:55] op_sel:[0,1] op_sel_hi:[1,0] neg_lo:[0,1] neg_hi:[0,1]
	v_pk_add_f32 v[54:55], v[112:113], v[54:55] op_sel:[0,1] op_sel_hi:[1,0]
	v_mov_b32_e32 v29, v21
	v_mov_b32_e32 v28, v54
	;; [unrolled: 1-line block ×3, first 2 shown]
	v_pk_mul_f32 v[42:43], v[110:111], s[10:11] op_sel_hi:[1,0]
	v_pk_fma_f32 v[28:29], v[12:13], s[0:1], v[28:29] op_sel_hi:[1,0,1]
	v_pk_fma_f32 v[12:13], v[12:13], s[0:1], v[20:21] op_sel_hi:[1,0,1]
	v_mul_i32_i24_e32 v20, 10, v92
	v_pk_add_f32 v[34:35], v[50:51], v[34:35]
	v_pk_add_f32 v[50:51], v[6:7], v[42:43] op_sel:[0,1] op_sel_hi:[1,0]
	v_pk_add_f32 v[6:7], v[6:7], v[42:43] op_sel:[0,1] op_sel_hi:[1,0] neg_lo:[0,1] neg_hi:[0,1]
	v_pk_mul_f32 v[42:43], v[108:109], s[4:5] op_sel_hi:[1,0]
	v_lshl_add_u32 v52, v20, 3, 0
	v_pk_add_f32 v[20:21], v[28:29], v[114:115]
	v_pk_add_f32 v[54:55], v[12:13], v[24:25] op_sel:[0,1] op_sel_hi:[1,0]
	v_pk_add_f32 v[50:51], v[42:43], v[50:51] op_sel:[1,0] op_sel_hi:[0,1]
	ds_write2_b64 v52, v[20:21], v[54:55] offset0:2 offset1:3
	v_pk_mul_f32 v[54:55], v[60:61], s[10:11] op_sel_hi:[1,0]
	v_pk_add_f32 v[6:7], v[6:7], v[42:43] op_sel:[0,1] op_sel_hi:[1,0] neg_lo:[0,1] neg_hi:[0,1]
	v_pk_fma_f32 v[42:43], v[34:35], s[0:1], v[50:51] op_sel_hi:[1,0,1]
	v_pk_add_f32 v[20:21], v[58:59], v[106:107]
	v_pk_add_f32 v[58:59], v[48:49], v[54:55] op_sel:[0,1] op_sel_hi:[1,0]
	v_pk_add_f32 v[48:49], v[48:49], v[54:55] op_sel:[0,1] op_sel_hi:[1,0] neg_lo:[0,1] neg_hi:[0,1]
	v_pk_mul_f32 v[54:55], v[56:57], s[4:5] op_sel_hi:[1,0]
	v_pk_mul_f32 v[42:43], v[42:43], s[14:15] op_sel_hi:[0,1]
	v_pk_fma_f32 v[56:57], v[34:35], s[0:1], v[6:7] op_sel_hi:[1,0,1]
	v_mov_b32_e32 v7, v51
	v_pk_add_f32 v[48:49], v[48:49], v[54:55] op_sel:[0,1] op_sel_hi:[1,0] neg_lo:[0,1] neg_hi:[0,1]
	v_pk_add_f32 v[54:55], v[58:59], v[54:55] op_sel:[0,1] op_sel_hi:[1,0]
	v_pk_fma_f32 v[58:59], v[56:57], s[4:5], v[42:43] op_sel:[1,0,0]
	v_pk_fma_f32 v[42:43], v[56:57], s[4:5], v[42:43] op_sel:[1,0,0] neg_lo:[0,0,1] neg_hi:[0,0,1]
	v_pk_fma_f32 v[6:7], v[34:35], s[0:1], v[6:7] op_sel_hi:[1,0,1]
	v_mov_b32_e32 v59, v43
	v_mov_b32_e32 v42, v54
	;; [unrolled: 1-line block ×4, first 2 shown]
	v_pk_mul_f32 v[34:35], v[6:7], s[14:15] op_sel_hi:[1,0]
	v_pk_fma_f32 v[42:43], v[20:21], s[0:1], v[42:43] op_sel_hi:[1,0,1]
	v_pk_fma_f32 v[20:21], v[20:21], s[0:1], v[48:49] op_sel_hi:[1,0,1]
	v_pk_fma_f32 v[6:7], v[6:7], s[16:17], v[34:35] op_sel:[0,0,1] op_sel_hi:[1,1,0] neg_lo:[0,0,1] neg_hi:[0,0,1]
	v_pk_add_f32 v[56:57], v[16:17], v[30:31]
	v_pk_add_f32 v[16:17], v[16:17], v[30:31] neg_lo:[0,1] neg_hi:[0,1]
	v_pk_add_f32 v[30:31], v[20:21], v[6:7] op_sel:[1,0] op_sel_hi:[0,1]
	v_mov_b32_e32 v34, v31
	v_mov_b32_e32 v35, v30
	ds_write2_b64 v52, v[34:35], v[16:17] offset0:4 offset1:5
	v_pk_add_f32 v[16:17], v[42:43], v[58:59] neg_lo:[0,1] neg_hi:[0,1]
	v_pk_add_f32 v[28:29], v[28:29], v[114:115] neg_lo:[0,1] neg_hi:[0,1]
	v_pk_add_f32 v[6:7], v[20:21], v[6:7] op_sel:[1,0] op_sel_hi:[0,1] neg_lo:[0,1] neg_hi:[0,1]
	ds_write2_b64 v52, v[16:17], v[28:29] offset0:6 offset1:7
	v_pk_add_f32 v[12:13], v[12:13], v[24:25] op_sel:[0,1] op_sel_hi:[1,0] neg_lo:[0,1] neg_hi:[0,1]
	v_mov_b32_e32 v16, v7
	v_mov_b32_e32 v17, v6
	ds_write2_b64 v52, v[12:13], v[16:17] offset0:8 offset1:9
	v_pk_fma_f32 v[16:17], v[118:119], 0.5, v[8:9] op_sel_hi:[1,0,1] neg_lo:[1,0,0] neg_hi:[1,0,0]
	v_pk_mul_f32 v[20:21], v[124:125], s[10:11] op_sel_hi:[1,0]
	v_pk_fma_f32 v[6:7], v[10:11], 0.5, v[2:3] op_sel_hi:[1,0,1] neg_lo:[1,0,0] neg_hi:[1,0,0]
	v_pk_add_f32 v[10:11], v[22:23], v[46:47]
	v_pk_add_f32 v[22:23], v[16:17], v[20:21] op_sel:[0,1] op_sel_hi:[1,0] neg_lo:[0,1] neg_hi:[0,1]
	v_pk_add_f32 v[16:17], v[16:17], v[20:21] op_sel:[0,1] op_sel_hi:[1,0]
	v_pk_mul_f32 v[20:21], v[116:117], s[4:5] op_sel_hi:[1,0]
	v_pk_add_f32 v[12:13], v[120:121], v[128:129]
	v_pk_add_f32 v[16:17], v[16:17], v[20:21] op_sel:[0,1] op_sel_hi:[1,0] neg_lo:[0,1] neg_hi:[0,1]
	v_pk_add_f32 v[20:21], v[22:23], v[20:21] op_sel:[0,1] op_sel_hi:[1,0]
	v_mov_b32_e32 v23, v17
	v_mov_b32_e32 v22, v20
	v_pk_fma_f32 v[22:23], v[12:13], s[0:1], v[22:23] op_sel_hi:[1,0,1]
	v_pk_fma_f32 v[2:3], v[38:39], 0.5, v[2:3] op_sel_hi:[1,0,1] neg_lo:[1,0,0] neg_hi:[1,0,0]
	v_pk_mul_f32 v[24:25], v[22:23], s[10:11] op_sel_hi:[1,0]
	v_mov_b32_e32 v17, v21
	v_pk_fma_f32 v[28:29], v[22:23], s[0:1], v[24:25] op_sel:[0,0,1] op_sel_hi:[1,0,0]
	v_pk_fma_f32 v[22:23], v[22:23], s[0:1], v[24:25] op_sel:[0,0,1] op_sel_hi:[1,0,0] neg_lo:[0,0,1] neg_hi:[0,0,1]
	v_pk_fma_f32 v[12:13], v[12:13], s[0:1], v[16:17] op_sel_hi:[1,0,1]
	v_mov_b32_e32 v29, v23
	v_pk_mul_f32 v[22:23], v[14:15], s[10:11] op_sel_hi:[1,0]
	v_pk_mul_f32 v[16:17], v[12:13], s[0:1] op_sel_hi:[1,0]
	v_pk_add_f32 v[24:25], v[2:3], v[22:23] op_sel:[0,1] op_sel_hi:[1,0] neg_lo:[0,1] neg_hi:[0,1]
	v_pk_add_f32 v[2:3], v[2:3], v[22:23] op_sel:[0,1] op_sel_hi:[1,0]
	v_pk_mul_f32 v[22:23], v[26:27], s[4:5] op_sel_hi:[1,0]
	v_pk_fma_f32 v[12:13], v[12:13], s[12:13], v[16:17] op_sel:[0,0,1] op_sel_hi:[1,1,0] neg_lo:[0,0,1] neg_hi:[0,0,1]
	v_pk_add_f32 v[2:3], v[2:3], v[22:23] op_sel:[0,1] op_sel_hi:[1,0] neg_lo:[0,1] neg_hi:[0,1]
	v_pk_add_f32 v[22:23], v[24:25], v[22:23] op_sel:[0,1] op_sel_hi:[1,0]
	v_mov_b32_e32 v17, v3
	v_mov_b32_e32 v16, v22
	;; [unrolled: 1-line block ×3, first 2 shown]
	v_pk_fma_f32 v[16:17], v[10:11], s[0:1], v[16:17] op_sel_hi:[1,0,1]
	v_pk_fma_f32 v[2:3], v[10:11], s[0:1], v[2:3] op_sel_hi:[1,0,1]
	v_mul_i32_i24_e32 v10, 10, v88
	v_pk_add_f32 v[60:61], v[42:43], v[58:59]
	v_lshl_add_u32 v53, v10, 3, 0
	v_pk_add_f32 v[10:11], v[16:17], v[28:29]
	v_pk_add_f32 v[20:21], v[2:3], v[12:13] op_sel:[0,1] op_sel_hi:[1,0]
	ds_write2_b64 v52, v[56:57], v[60:61] offset1:1
	ds_write2_b64 v53, v[10:11], v[20:21] offset0:2 offset1:3
	v_pk_add_f32 v[10:11], v[18:19], v[40:41]
	v_pk_mul_f32 v[18:19], v[26:27], s[10:11] op_sel_hi:[1,0]
	v_pk_mul_f32 v[14:15], v[14:15], s[4:5] op_sel_hi:[1,0]
	v_pk_add_f32 v[20:21], v[6:7], v[18:19] op_sel:[0,1] op_sel_hi:[1,0]
	v_pk_add_f32 v[6:7], v[6:7], v[18:19] op_sel:[0,1] op_sel_hi:[1,0] neg_lo:[0,1] neg_hi:[0,1]
	v_pk_fma_f32 v[8:9], v[44:45], 0.5, v[8:9] op_sel_hi:[1,0,1] neg_lo:[1,0,0] neg_hi:[1,0,0]
	v_pk_add_f32 v[6:7], v[6:7], v[14:15] op_sel:[0,1] op_sel_hi:[1,0] neg_lo:[0,1] neg_hi:[0,1]
	v_pk_add_f32 v[14:15], v[20:21], v[14:15] op_sel:[0,1] op_sel_hi:[1,0]
	v_pk_mul_f32 v[20:21], v[116:117], s[10:11] op_sel_hi:[1,0]
	v_pk_add_f32 v[18:19], v[122:123], v[36:37]
	v_pk_add_f32 v[22:23], v[8:9], v[20:21] op_sel:[0,1] op_sel_hi:[1,0]
	v_pk_add_f32 v[8:9], v[8:9], v[20:21] op_sel:[0,1] op_sel_hi:[1,0] neg_lo:[0,1] neg_hi:[0,1]
	v_pk_mul_f32 v[20:21], v[124:125], s[4:5] op_sel_hi:[1,0]
	v_pk_add_f32 v[2:3], v[2:3], v[12:13] op_sel:[0,1] op_sel_hi:[1,0] neg_lo:[0,1] neg_hi:[0,1]
	v_pk_add_f32 v[22:23], v[20:21], v[22:23] op_sel:[1,0] op_sel_hi:[0,1]
	v_pk_add_f32 v[8:9], v[8:9], v[20:21] op_sel:[0,1] op_sel_hi:[1,0] neg_lo:[0,1] neg_hi:[0,1]
	v_pk_fma_f32 v[20:21], v[18:19], s[0:1], v[22:23] op_sel_hi:[1,0,1]
	v_pk_fma_f32 v[24:25], v[18:19], s[0:1], v[8:9] op_sel_hi:[1,0,1]
	v_pk_mul_f32 v[20:21], v[20:21], s[14:15] op_sel_hi:[0,1]
	v_pk_fma_f32 v[26:27], v[24:25], s[4:5], v[20:21] op_sel:[1,0,0]
	v_pk_fma_f32 v[20:21], v[24:25], s[4:5], v[20:21] op_sel:[1,0,0] neg_lo:[0,0,1] neg_hi:[0,0,1]
	v_mov_b32_e32 v9, v23
	v_mov_b32_e32 v27, v21
	;; [unrolled: 1-line block ×5, first 2 shown]
	v_pk_fma_f32 v[8:9], v[18:19], s[0:1], v[8:9] op_sel_hi:[1,0,1]
	v_pk_fma_f32 v[20:21], v[10:11], s[0:1], v[20:21] op_sel_hi:[1,0,1]
	;; [unrolled: 1-line block ×3, first 2 shown]
	v_pk_mul_f32 v[10:11], v[8:9], s[14:15] op_sel_hi:[1,0]
	v_pk_add_f32 v[24:25], v[4:5], v[32:33]
	v_pk_fma_f32 v[8:9], v[8:9], s[16:17], v[10:11] op_sel:[0,0,1] op_sel_hi:[1,1,0] neg_lo:[0,0,1] neg_hi:[0,0,1]
	v_pk_add_f32 v[4:5], v[4:5], v[32:33] neg_lo:[0,1] neg_hi:[0,1]
	v_pk_add_f32 v[10:11], v[6:7], v[8:9] op_sel:[1,0] op_sel_hi:[0,1]
	v_mov_b32_e32 v14, v11
	v_mov_b32_e32 v15, v10
	ds_write2_b64 v53, v[14:15], v[4:5] offset0:4 offset1:5
	v_pk_add_f32 v[4:5], v[20:21], v[26:27] neg_lo:[0,1] neg_hi:[0,1]
	v_pk_add_f32 v[10:11], v[16:17], v[28:29] neg_lo:[0,1] neg_hi:[0,1]
	ds_write2_b64 v53, v[4:5], v[10:11] offset0:6 offset1:7
	v_pk_add_f32 v[4:5], v[6:7], v[8:9] op_sel:[1,0] op_sel_hi:[0,1] neg_lo:[0,1] neg_hi:[0,1]
	v_mov_b32_e32 v6, v5
	v_mov_b32_e32 v7, v4
	s_mov_b32 s0, 0xcccd
	ds_write2_b64 v53, v[2:3], v[6:7] offset0:8 offset1:9
	v_mul_u32_u24_sdwa v2, v97, s0 dst_sel:DWORD dst_unused:UNUSED_PAD src0_sel:WORD_0 src1_sel:DWORD
	v_lshrrev_b32_e32 v55, 19, v2
	v_mul_lo_u16_e32 v2, 10, v55
	v_sub_u16_e32 v54, v97, v2
	v_mul_u32_u24_e32 v2, 5, v54
	v_pk_add_f32 v[30:31], v[20:21], v[26:27]
	v_lshlrev_b32_e32 v10, 3, v2
	v_mul_u32_u24_sdwa v12, v96, s0 dst_sel:DWORD dst_unused:UNUSED_PAD src0_sel:WORD_0 src1_sel:DWORD
	ds_write2_b64 v53, v[24:25], v[30:31] offset1:1
	s_waitcnt lgkmcnt(0)
	s_barrier
	global_load_dwordx4 v[2:5], v10, s[8:9]
	v_mul_u32_u24_sdwa v6, v88, s0 dst_sel:DWORD dst_unused:UNUSED_PAD src0_sel:WORD_0 src1_sel:DWORD
	v_lshrrev_b32_e32 v57, 19, v12
	v_lshrrev_b32_e32 v58, 19, v6
	v_mul_lo_u16_e32 v12, 10, v57
	v_mul_lo_u16_e32 v6, 10, v58
	v_sub_u16_e32 v56, v96, v12
	v_sub_u16_e32 v59, v88, v6
	v_mul_u32_u24_e32 v12, 5, v56
	s_movk_i32 s0, 0xcd
	v_mul_u32_u24_e32 v6, 5, v59
	v_lshlrev_b32_e32 v28, 3, v12
	v_mul_lo_u16_sdwa v12, v92, s0 dst_sel:DWORD dst_unused:UNUSED_PAD src0_sel:BYTE_0 src1_sel:DWORD
	v_lshlrev_b32_e32 v11, 3, v6
	global_load_dwordx4 v[6:9], v11, s[8:9]
	v_lshrrev_b16_e32 v166, 11, v12
	v_mul_lo_u16_e32 v12, 10, v166
	v_sub_u16_e32 v167, v92, v12
	v_mov_b32_e32 v12, 5
	v_mul_u32_u24_sdwa v13, v167, v12 dst_sel:DWORD dst_unused:UNUSED_PAD src0_sel:BYTE_0 src1_sel:DWORD
	global_load_dwordx2 v[18:19], v28, s[8:9] offset:32
	global_load_dwordx2 v[44:45], v11, s[8:9] offset:32
	global_load_dwordx2 v[46:47], v10, s[8:9] offset:32
	v_lshlrev_b32_e32 v38, 3, v13
	global_load_dwordx2 v[60:61], v38, s[8:9] offset:32
	v_mul_lo_u16_sdwa v13, v0, s0 dst_sel:DWORD dst_unused:UNUSED_PAD src0_sel:BYTE_0 src1_sel:DWORD
	v_lshrrev_b16_e32 v168, 11, v13
	v_mul_lo_u16_e32 v13, 10, v168
	v_sub_u16_e32 v169, v0, v13
	v_mul_u32_u24_sdwa v12, v169, v12 dst_sel:DWORD dst_unused:UNUSED_PAD src0_sel:BYTE_0 src1_sel:DWORD
	v_lshlrev_b32_e32 v14, 3, v12
	global_load_dwordx4 v[20:23], v14, s[8:9]
	global_load_dwordx2 v[130:131], v14, s[8:9] offset:32
	global_load_dwordx4 v[48:51], v28, s[8:9] offset:16
	global_load_dwordx4 v[106:109], v10, s[8:9] offset:16
	;; [unrolled: 1-line block ×4, first 2 shown]
	ds_read2st64_b64 v[24:27], v104 offset0:14 offset1:16
	ds_read2st64_b64 v[32:35], v104 offset0:24 offset1:26
	global_load_dwordx4 v[118:121], v14, s[8:9] offset:16
	global_load_dwordx4 v[122:125], v28, s[8:9]
	global_load_dwordx4 v[126:129], v38, s[8:9]
	ds_read2st64_b64 v[40:43], v104 offset0:52 offset1:54
	s_mov_b32 s0, 0x3f5db3d7
	s_mov_b32 s1, 0xbf5db3d7
	s_movk_i32 s4, 0xffb8
	s_mov_b32 s10, 0x5040100
	s_movk_i32 s5, 0x3c0
	s_waitcnt vmcnt(14) lgkmcnt(2)
	v_pk_mul_f32 v[12:13], v[26:27], v[2:3] op_sel:[0,1]
	s_nop 0
	v_pk_fma_f32 v[10:11], v[26:27], v[2:3], v[12:13] op_sel:[0,0,1] op_sel_hi:[1,1,0] neg_lo:[0,0,1] neg_hi:[0,0,1]
	v_pk_fma_f32 v[14:15], v[26:27], v[2:3], v[12:13] op_sel:[0,0,1] op_sel_hi:[1,0,0]
	v_mov_b32_e32 v2, v5
	s_waitcnt lgkmcnt(1)
	v_pk_mul_f32 v[2:3], v[34:35], v[2:3] op_sel_hi:[1,0]
	v_mov_b32_e32 v11, v15
	v_pk_fma_f32 v[12:13], v[34:35], v[4:5], v[2:3] op_sel:[0,0,1] op_sel_hi:[1,1,0] neg_lo:[0,0,1] neg_hi:[0,0,1]
	v_pk_fma_f32 v[16:17], v[34:35], v[4:5], v[2:3] op_sel:[0,0,1] op_sel_hi:[1,0,0]
	ds_read2st64_b64 v[34:37], v104 offset0:56 offset1:58
	v_mov_b32_e32 v13, v17
	s_waitcnt vmcnt(13)
	v_pk_mul_f32 v[2:3], v[24:25], v[6:7] op_sel:[0,1]
	s_nop 0
	v_pk_fma_f32 v[26:27], v[24:25], v[6:7], v[2:3] op_sel:[0,0,1] op_sel_hi:[1,1,0] neg_lo:[0,0,1] neg_hi:[0,0,1]
	v_pk_fma_f32 v[30:31], v[24:25], v[6:7], v[2:3] op_sel:[0,0,1] op_sel_hi:[1,0,0]
	v_mov_b32_e32 v2, v9
	v_pk_mul_f32 v[2:3], v[32:33], v[2:3] op_sel_hi:[1,0]
	s_waitcnt vmcnt(12) lgkmcnt(0)
	v_pk_mul_f32 v[4:5], v[36:37], v[18:19] op_sel:[0,1]
	v_pk_fma_f32 v[28:29], v[32:33], v[8:9], v[2:3] op_sel:[0,0,1] op_sel_hi:[1,1,0] neg_lo:[0,0,1] neg_hi:[0,0,1]
	v_pk_fma_f32 v[38:39], v[32:33], v[8:9], v[2:3] op_sel:[0,0,1] op_sel_hi:[1,0,0]
	v_pk_fma_f32 v[2:3], v[36:37], v[18:19], v[4:5] op_sel:[0,0,1] op_sel_hi:[1,1,0] neg_lo:[0,0,1] neg_hi:[0,0,1]
	v_pk_fma_f32 v[4:5], v[36:37], v[18:19], v[4:5] op_sel:[0,0,1] op_sel_hi:[1,0,0]
	s_waitcnt vmcnt(10)
	v_pk_mul_f32 v[8:9], v[34:35], v[46:47] op_sel:[0,1]
	v_pk_mul_f32 v[18:19], v[42:43], v[44:45] op_sel:[0,1]
	v_pk_fma_f32 v[6:7], v[34:35], v[46:47], v[8:9] op_sel:[0,0,1] op_sel_hi:[1,1,0] neg_lo:[0,0,1] neg_hi:[0,0,1]
	v_pk_fma_f32 v[8:9], v[34:35], v[46:47], v[8:9] op_sel:[0,0,1] op_sel_hi:[1,0,0]
	v_pk_fma_f32 v[34:35], v[42:43], v[44:45], v[18:19] op_sel:[0,0,1] op_sel_hi:[1,1,0] neg_lo:[0,0,1] neg_hi:[0,0,1]
	v_pk_fma_f32 v[46:47], v[42:43], v[44:45], v[18:19] op_sel:[0,0,1] op_sel_hi:[1,0,0]
	s_waitcnt vmcnt(9)
	v_pk_mul_f32 v[18:19], v[40:41], v[60:61] op_sel:[0,1]
	v_lshl_add_u32 v38, v68, 3, 0
	v_pk_fma_f32 v[136:137], v[40:41], v[60:61], v[18:19] op_sel:[0,0,1] op_sel_hi:[1,1,0] neg_lo:[0,0,1] neg_hi:[0,0,1]
	v_pk_fma_f32 v[60:61], v[40:41], v[60:61], v[18:19] op_sel:[0,0,1] op_sel_hi:[1,0,0]
	ds_read_b64 v[18:19], v38
	v_lshl_add_u32 v30, v100, 3, 0
	ds_read_b64 v[24:25], v30
	s_waitcnt vmcnt(8)
	v_mov_b32_e32 v4, v23
	v_lshl_add_u32 v46, v97, 3, 0
	s_waitcnt lgkmcnt(1)
	v_pk_mul_f32 v[32:33], v[20:21], v[18:19] op_sel:[0,1]
	v_mov_b32_e32 v8, 3
	v_pk_fma_f32 v[138:139], v[20:21], v[18:19], v[32:33] op_sel:[0,0,1] op_sel_hi:[1,1,0] neg_lo:[0,0,1] neg_hi:[0,0,1]
	v_pk_fma_f32 v[140:141], v[20:21], v[18:19], v[32:33] op_sel:[0,0,1] op_sel_hi:[1,0,0]
	ds_read2st64_b64 v[18:21], v104 offset0:48 offset1:50
	s_waitcnt lgkmcnt(1)
	v_pk_mul_f32 v[32:33], v[24:25], v[4:5] op_sel_hi:[1,0]
	s_waitcnt vmcnt(6)
	v_mov_b32_e32 v4, v51
	v_pk_fma_f32 v[142:143], v[24:25], v[22:23], v[32:33] op_sel:[0,0,1] op_sel_hi:[1,1,0] neg_lo:[0,0,1] neg_hi:[0,0,1]
	v_pk_fma_f32 v[144:145], v[24:25], v[22:23], v[32:33] op_sel:[0,0,1] op_sel_hi:[1,0,0]
	s_waitcnt lgkmcnt(0)
	v_pk_mul_f32 v[22:23], v[20:21], v[130:131] op_sel:[0,1]
	v_mov_b32_e32 v143, v145
	v_pk_fma_f32 v[146:147], v[20:21], v[130:131], v[22:23] op_sel:[0,0,1] op_sel_hi:[1,1,0] neg_lo:[0,0,1] neg_hi:[0,0,1]
	v_pk_fma_f32 v[148:149], v[20:21], v[130:131], v[22:23] op_sel:[0,0,1] op_sel_hi:[1,0,0]
	ds_read2st64_b64 v[130:133], v104 offset0:36 offset1:38
	v_pk_mul_f32 v[22:23], v[18:19], v[4:5] op_sel_hi:[1,0]
	s_waitcnt vmcnt(5)
	v_mov_b32_e32 v4, v109
	v_pk_fma_f32 v[20:21], v[18:19], v[50:51], v[22:23] op_sel:[0,0,1] op_sel_hi:[1,1,0] neg_lo:[0,0,1] neg_hi:[0,0,1]
	v_pk_fma_f32 v[22:23], v[18:19], v[50:51], v[22:23] op_sel:[0,0,1] op_sel_hi:[1,0,0]
	s_waitcnt lgkmcnt(0)
	v_pk_mul_f32 v[24:25], v[132:133], v[48:49] op_sel:[0,1]
	v_pk_mul_f32 v[32:33], v[130:131], v[106:107] op_sel:[0,1]
	v_pk_fma_f32 v[18:19], v[132:133], v[48:49], v[24:25] op_sel:[0,0,1] op_sel_hi:[1,1,0] neg_lo:[0,0,1] neg_hi:[0,0,1]
	v_pk_fma_f32 v[24:25], v[132:133], v[48:49], v[24:25] op_sel:[0,0,1] op_sel_hi:[1,0,0]
	ds_read2st64_b64 v[132:135], v104 offset0:44 offset1:46
	v_pk_fma_f32 v[50:51], v[130:131], v[106:107], v[32:33] op_sel:[0,0,1] op_sel_hi:[1,1,0] neg_lo:[0,0,1] neg_hi:[0,0,1]
	v_pk_fma_f32 v[130:131], v[130:131], v[106:107], v[32:33] op_sel:[0,0,1] op_sel_hi:[1,0,0]
	v_mov_b32_e32 v147, v149
	v_mov_b32_e32 v139, v141
	s_waitcnt lgkmcnt(0)
	v_pk_mul_f32 v[32:33], v[134:135], v[4:5] op_sel_hi:[1,0]
	s_waitcnt vmcnt(4)
	v_mov_b32_e32 v4, v113
	v_pk_fma_f32 v[150:151], v[134:135], v[108:109], v[32:33] op_sel:[0,0,1] op_sel_hi:[1,1,0] neg_lo:[0,0,1] neg_hi:[0,0,1]
	v_pk_fma_f32 v[134:135], v[134:135], v[108:109], v[32:33] op_sel:[0,0,1] op_sel_hi:[1,0,0]
	ds_read2st64_b64 v[106:109], v104 offset0:32 offset1:34
	v_pk_mul_f32 v[32:33], v[132:133], v[4:5] op_sel_hi:[1,0]
	s_waitcnt vmcnt(3)
	v_mov_b32_e32 v4, v117
	v_pk_fma_f32 v[152:153], v[132:133], v[112:113], v[32:33] op_sel:[0,0,1] op_sel_hi:[1,1,0] neg_lo:[0,0,1] neg_hi:[0,0,1]
	v_pk_fma_f32 v[132:133], v[132:133], v[112:113], v[32:33] op_sel:[0,0,1] op_sel_hi:[1,0,0]
	s_waitcnt lgkmcnt(0)
	v_pk_mul_f32 v[32:33], v[108:109], v[110:111] op_sel:[0,1]
	v_lshl_add_u32 v22, v96, 3, 0
	v_pk_fma_f32 v[154:155], v[108:109], v[110:111], v[32:33] op_sel:[0,0,1] op_sel_hi:[1,1,0] neg_lo:[0,0,1] neg_hi:[0,0,1]
	v_pk_fma_f32 v[156:157], v[108:109], v[110:111], v[32:33] op_sel:[0,0,1] op_sel_hi:[1,0,0]
	ds_read2st64_b64 v[108:111], v104 offset0:40 offset1:42
	v_pk_mul_f32 v[32:33], v[106:107], v[114:115] op_sel:[0,1]
	v_mad_i32_i24 v24, v88, s4, v53
	v_pk_fma_f32 v[158:159], v[106:107], v[114:115], v[32:33] op_sel:[0,0,1] op_sel_hi:[1,1,0] neg_lo:[0,0,1] neg_hi:[0,0,1]
	v_pk_fma_f32 v[114:115], v[106:107], v[114:115], v[32:33] op_sel:[0,0,1] op_sel_hi:[1,0,0]
	s_waitcnt lgkmcnt(0)
	v_pk_mul_f32 v[32:33], v[110:111], v[4:5] op_sel_hi:[1,0]
	s_waitcnt vmcnt(2)
	v_mov_b32_e32 v4, v121
	v_pk_fma_f32 v[160:161], v[110:111], v[116:117], v[32:33] op_sel:[0,0,1] op_sel_hi:[1,1,0] neg_lo:[0,0,1] neg_hi:[0,0,1]
	v_pk_fma_f32 v[116:117], v[110:111], v[116:117], v[32:33] op_sel:[0,0,1] op_sel_hi:[1,0,0]
	ds_read2st64_b64 v[110:113], v104 offset0:28 offset1:30
	v_pk_mul_f32 v[32:33], v[108:109], v[4:5] op_sel_hi:[1,0]
	s_waitcnt vmcnt(1)
	v_mov_b32_e32 v4, v125
	v_pk_fma_f32 v[162:163], v[108:109], v[120:121], v[32:33] op_sel:[0,0,1] op_sel_hi:[1,1,0] neg_lo:[0,0,1] neg_hi:[0,0,1]
	v_pk_fma_f32 v[120:121], v[108:109], v[120:121], v[32:33] op_sel:[0,0,1] op_sel_hi:[1,0,0]
	ds_read2st64_b64 v[106:109], v104 offset0:18 offset1:22
	s_waitcnt lgkmcnt(1)
	v_pk_mul_f32 v[32:33], v[112:113], v[118:119] op_sel:[0,1]
	v_mov_b32_e32 v163, v121
	v_pk_fma_f32 v[164:165], v[112:113], v[118:119], v[32:33] op_sel:[0,0,1] op_sel_hi:[1,1,0] neg_lo:[0,0,1] neg_hi:[0,0,1]
	v_pk_fma_f32 v[112:113], v[112:113], v[118:119], v[32:33] op_sel:[0,0,1] op_sel_hi:[1,0,0]
	v_pk_mul_f32 v[32:33], v[110:111], v[4:5] op_sel_hi:[1,0]
	s_waitcnt vmcnt(0)
	v_mov_b32_e32 v4, v129
	s_waitcnt lgkmcnt(0)
	v_pk_mul_f32 v[44:45], v[106:107], v[122:123] op_sel:[0,1]
	v_pk_mul_f32 v[48:49], v[108:109], v[4:5] op_sel_hi:[1,0]
	v_pk_fma_f32 v[36:37], v[110:111], v[124:125], v[32:33] op_sel:[0,0,1] op_sel_hi:[1,1,0] neg_lo:[0,0,1] neg_hi:[0,0,1]
	v_pk_fma_f32 v[40:41], v[110:111], v[124:125], v[32:33] op_sel:[0,0,1] op_sel_hi:[1,0,0]
	v_pk_fma_f32 v[32:33], v[106:107], v[122:123], v[44:45] op_sel:[0,0,1] op_sel_hi:[1,1,0] neg_lo:[0,0,1] neg_hi:[0,0,1]
	v_pk_fma_f32 v[44:45], v[106:107], v[122:123], v[44:45] op_sel:[0,0,1] op_sel_hi:[1,0,0]
	;; [unrolled: 2-line block ×3, first 2 shown]
	ds_read2st64_b64 v[106:109], v104 offset1:12
	v_mov_b32_e32 v165, v113
	v_pk_add_f32 v[112:113], v[142:143], v[162:163]
	v_pk_add_f32 v[120:121], v[142:143], v[162:163] neg_lo:[0,1] neg_hi:[0,1]
	v_pk_add_f32 v[128:129], v[164:165], v[146:147] neg_lo:[0,1] neg_hi:[0,1]
	s_waitcnt lgkmcnt(0)
	v_pk_fma_f32 v[112:113], v[112:113], 0.5, v[106:107] op_sel_hi:[1,0,1] neg_lo:[1,0,0] neg_hi:[1,0,0]
	v_pk_mul_f32 v[120:121], v[120:121], s[0:1] op_sel_hi:[1,0]
	v_pk_mul_f32 v[48:49], v[108:109], v[126:127] op_sel:[0,1]
	v_pk_add_f32 v[124:125], v[120:121], v[112:113] op_sel:[1,0] op_sel_hi:[0,1]
	v_pk_add_f32 v[112:113], v[112:113], v[120:121] op_sel:[0,1] op_sel_hi:[1,0] neg_lo:[0,1] neg_hi:[0,1]
	v_pk_add_f32 v[120:121], v[164:165], v[146:147]
	v_pk_fma_f32 v[122:123], v[108:109], v[126:127], v[48:49] op_sel:[0,0,1] op_sel_hi:[1,1,0] neg_lo:[0,0,1] neg_hi:[0,0,1]
	v_pk_fma_f32 v[120:121], v[120:121], 0.5, v[138:139] op_sel_hi:[1,0,1] neg_lo:[1,0,0] neg_hi:[1,0,0]
	v_pk_fma_f32 v[108:109], v[108:109], v[126:127], v[48:49] op_sel:[0,0,1] op_sel_hi:[1,0,0]
	v_pk_add_f32 v[126:127], v[138:139], v[164:165]
	v_pk_fma_f32 v[138:139], v[128:129], s[0:1], v[120:121] op_sel:[0,0,1] op_sel_hi:[1,0,0]
	ds_read_b64 v[42:43], v46
	ds_read_b64 v[48:49], v22
	v_pk_fma_f32 v[120:121], v[128:129], s[0:1], v[120:121] op_sel:[0,0,1] op_sel_hi:[1,0,0] neg_lo:[1,0,0] neg_hi:[1,0,0]
	v_mul_u32_u24_e32 v3, 0x1e0, v168
	v_lshlrev_b32_sdwa v4, v8, v169 dst_sel:DWORD dst_unused:UNUSED_PAD src0_sel:DWORD src1_sel:BYTE_0
	v_mad_i32_i24 v40, v92, s4, v52
	ds_read_b64 v[128:129], v24
	ds_read_b64 v[140:141], v40
	v_mul_f32_e32 v7, 0xbf5db3d7, v139
	v_pk_add_f32 v[106:107], v[106:107], v[142:143]
	v_add3_u32 v3, 0, v3, v4
	v_mul_f32_e32 v4, 0x3f5db3d7, v120
	v_fmac_f32_e32 v7, 0.5, v120
	v_mov_b32_e32 v120, v138
	v_pk_add_f32 v[106:107], v[106:107], v[162:163]
	v_pk_add_f32 v[126:127], v[126:127], v[146:147]
	v_fmac_f32_e32 v4, 0.5, v139
	v_pk_mul_f32 v[138:139], v[120:121], 0.5 op_sel_hi:[1,0]
	v_pk_add_f32 v[144:145], v[106:107], v[126:127]
	v_pk_fma_f32 v[120:121], v[120:121], s[0:1], v[138:139] op_sel:[0,0,1] op_sel_hi:[1,1,0] neg_lo:[0,0,1] neg_hi:[0,0,1]
	v_pk_add_f32 v[106:107], v[106:107], v[126:127] neg_lo:[0,1] neg_hi:[0,1]
	v_mov_b32_e32 v126, v112
	v_mov_b32_e32 v127, v125
	;; [unrolled: 1-line block ×4, first 2 shown]
	v_pk_add_f32 v[138:139], v[126:127], v[120:121]
	v_mov_b32_e32 v123, v109
	v_mov_b32_e32 v137, v61
	v_pk_add_f32 v[60:61], v[110:111], v[160:161]
	v_pk_add_f32 v[108:109], v[110:111], v[160:161] neg_lo:[0,1] neg_hi:[0,1]
	s_waitcnt lgkmcnt(0)
	s_barrier
	v_add_f32_e32 v143, v113, v7
	ds_write2_b64 v3, v[138:139], v[106:107] offset0:20 offset1:30
	v_sub_f32_e32 v106, v124, v4
	v_sub_f32_e32 v107, v113, v7
	v_pk_add_f32 v[112:113], v[126:127], v[120:121] neg_lo:[0,1] neg_hi:[0,1]
	v_mov_b32_e32 v159, v115
	v_pk_fma_f32 v[60:61], v[60:61], 0.5, v[140:141] op_sel_hi:[1,0,1] neg_lo:[1,0,0] neg_hi:[1,0,0]
	v_pk_mul_f32 v[108:109], v[108:109], s[0:1] op_sel_hi:[1,0]
	ds_write2_b64 v3, v[106:107], v[112:113] offset0:40 offset1:50
	v_pk_add_f32 v[106:107], v[140:141], v[110:111]
	v_pk_add_f32 v[110:111], v[108:109], v[60:61] op_sel:[1,0] op_sel_hi:[0,1]
	v_pk_add_f32 v[60:61], v[60:61], v[108:109] op_sel:[0,1] op_sel_hi:[1,0] neg_lo:[0,1] neg_hi:[0,1]
	v_pk_add_f32 v[108:109], v[158:159], v[136:137]
	v_add_f32_e32 v142, v124, v4
	v_pk_fma_f32 v[108:109], v[108:109], 0.5, v[122:123] op_sel_hi:[1,0,1] neg_lo:[1,0,0] neg_hi:[1,0,0]
	v_pk_add_f32 v[114:115], v[158:159], v[136:137] neg_lo:[0,1] neg_hi:[0,1]
	ds_write2_b64 v3, v[144:145], v[142:143] offset1:10
	v_pk_fma_f32 v[116:117], v[114:115], s[0:1], v[108:109] op_sel:[0,0,1] op_sel_hi:[1,0,0]
	v_pk_fma_f32 v[108:109], v[114:115], s[0:1], v[108:109] op_sel:[0,0,1] op_sel_hi:[1,0,0] neg_lo:[1,0,0] neg_hi:[1,0,0]
	v_mul_u32_u24_e32 v3, 0x1e0, v166
	v_lshlrev_b32_sdwa v4, v8, v167 dst_sel:DWORD dst_unused:UNUSED_PAD src0_sel:DWORD src1_sel:BYTE_0
	v_pk_add_f32 v[112:113], v[122:123], v[158:159]
	v_add3_u32 v3, 0, v3, v4
	v_mul_f32_e32 v4, 0x3f5db3d7, v108
	v_mul_f32_e32 v7, 0xbf5db3d7, v117
	v_pk_add_f32 v[106:107], v[106:107], v[160:161]
	v_pk_add_f32 v[112:113], v[112:113], v[136:137]
	v_fmac_f32_e32 v4, 0.5, v117
	v_fmac_f32_e32 v7, 0.5, v108
	v_add_f32_e32 v114, v110, v4
	v_add_f32_e32 v115, v61, v7
	v_pk_add_f32 v[118:119], v[106:107], v[112:113]
	v_mov_b32_e32 v108, v116
	ds_write2_b64 v3, v[118:119], v[114:115] offset1:10
	v_pk_mul_f32 v[114:115], v[108:109], 0.5 op_sel_hi:[1,0]
	v_pk_add_f32 v[106:107], v[106:107], v[112:113] neg_lo:[0,1] neg_hi:[0,1]
	v_pk_fma_f32 v[108:109], v[108:109], s[0:1], v[114:115] op_sel:[0,0,1] op_sel_hi:[1,1,0] neg_lo:[0,0,1] neg_hi:[0,0,1]
	v_mov_b32_e32 v112, v60
	v_mov_b32_e32 v113, v111
	v_pk_add_f32 v[114:115], v[112:113], v[108:109]
	ds_write2_b64 v3, v[114:115], v[106:107] offset0:20 offset1:30
	v_sub_f32_e32 v60, v110, v4
	v_sub_f32_e32 v61, v61, v7
	v_pk_add_f32 v[106:107], v[112:113], v[108:109] neg_lo:[0,1] neg_hi:[0,1]
	v_mov_b32_e32 v29, v39
	v_mov_b32_e32 v153, v133
	ds_write2_b64 v3, v[60:61], v[106:107] offset0:40 offset1:50
	v_pk_add_f32 v[60:61], v[28:29], v[152:153]
	v_pk_add_f32 v[106:107], v[128:129], v[28:29]
	v_pk_add_f32 v[28:29], v[28:29], v[152:153] neg_lo:[0,1] neg_hi:[0,1]
	v_mov_b32_e32 v155, v157
	v_mov_b32_e32 v35, v47
	v_pk_fma_f32 v[60:61], v[60:61], 0.5, v[128:129] op_sel_hi:[1,0,1] neg_lo:[1,0,0] neg_hi:[1,0,0]
	v_pk_mul_f32 v[28:29], v[28:29], s[0:1] op_sel_hi:[1,0]
	v_mov_b32_e32 v27, v31
	v_pk_add_f32 v[108:109], v[28:29], v[60:61] op_sel:[1,0] op_sel_hi:[0,1]
	v_pk_add_f32 v[28:29], v[60:61], v[28:29] op_sel:[0,1] op_sel_hi:[1,0] neg_lo:[0,1] neg_hi:[0,1]
	v_pk_add_f32 v[60:61], v[154:155], v[34:35]
	v_mul_u32_u24_e32 v3, 0x1e0, v58
	v_pk_fma_f32 v[60:61], v[60:61], 0.5, v[26:27] op_sel_hi:[1,0,1] neg_lo:[1,0,0] neg_hi:[1,0,0]
	v_pk_add_f32 v[26:27], v[26:27], v[154:155]
	v_lshlrev_b32_e32 v4, 3, v59
	v_pk_add_f32 v[26:27], v[26:27], v[34:35]
	v_pk_add_f32 v[34:35], v[154:155], v[34:35] neg_lo:[0,1] neg_hi:[0,1]
	v_add3_u32 v3, 0, v3, v4
	v_pk_fma_f32 v[110:111], v[34:35], s[0:1], v[60:61] op_sel:[0,0,1] op_sel_hi:[1,0,0]
	v_pk_fma_f32 v[34:35], v[34:35], s[0:1], v[60:61] op_sel:[0,0,1] op_sel_hi:[1,0,0] neg_lo:[1,0,0] neg_hi:[1,0,0]
	v_mul_f32_e32 v7, 0xbf5db3d7, v111
	v_mul_f32_e32 v4, 0x3f5db3d7, v34
	v_pk_add_f32 v[106:107], v[106:107], v[152:153]
	v_fmac_f32_e32 v4, 0.5, v111
	v_fmac_f32_e32 v7, 0.5, v34
	v_add_f32_e32 v58, v108, v4
	v_add_f32_e32 v59, v29, v7
	v_pk_add_f32 v[60:61], v[106:107], v[26:27]
	v_mov_b32_e32 v34, v110
	ds_write2_b64 v3, v[60:61], v[58:59] offset1:10
	v_pk_mul_f32 v[58:59], v[34:35], 0.5 op_sel_hi:[1,0]
	v_mov_b32_e32 v151, v135
	v_pk_fma_f32 v[34:35], v[34:35], s[0:1], v[58:59] op_sel:[0,0,1] op_sel_hi:[1,1,0] neg_lo:[0,0,1] neg_hi:[0,0,1]
	v_mov_b32_e32 v58, v28
	v_mov_b32_e32 v59, v109
	v_pk_add_f32 v[26:27], v[106:107], v[26:27] neg_lo:[0,1] neg_hi:[0,1]
	v_pk_add_f32 v[60:61], v[58:59], v[34:35]
	v_pk_add_f32 v[14:15], v[12:13], v[150:151]
	;; [unrolled: 1-line block ×3, first 2 shown]
	v_pk_add_f32 v[12:13], v[12:13], v[150:151] neg_lo:[0,1] neg_hi:[0,1]
	ds_write2_b64 v3, v[60:61], v[26:27] offset0:20 offset1:30
	v_sub_f32_e32 v26, v108, v4
	v_sub_f32_e32 v27, v29, v7
	v_pk_add_f32 v[28:29], v[58:59], v[34:35] neg_lo:[0,1] neg_hi:[0,1]
	v_mov_b32_e32 v51, v131
	v_mov_b32_e32 v7, v9
	v_pk_fma_f32 v[14:15], v[14:15], 0.5, v[42:43] op_sel_hi:[1,0,1] neg_lo:[1,0,0] neg_hi:[1,0,0]
	v_pk_mul_f32 v[12:13], v[12:13], s[0:1] op_sel_hi:[1,0]
	ds_write2_b64 v3, v[26:27], v[28:29] offset0:40 offset1:50
	v_pk_add_f32 v[26:27], v[12:13], v[14:15] op_sel:[1,0] op_sel_hi:[0,1]
	v_pk_add_f32 v[12:13], v[14:15], v[12:13] op_sel:[0,1] op_sel_hi:[1,0] neg_lo:[0,1] neg_hi:[0,1]
	v_pk_add_f32 v[14:15], v[50:51], v[6:7]
	v_perm_b32 v3, v55, v57, s10
	v_pk_fma_f32 v[14:15], v[14:15], 0.5, v[10:11] op_sel_hi:[1,0,1] neg_lo:[1,0,0] neg_hi:[1,0,0]
	v_pk_add_f32 v[10:11], v[10:11], v[50:51]
	s_movk_i32 s4, 0x1e0
	v_pk_add_f32 v[10:11], v[10:11], v[6:7]
	v_pk_add_f32 v[6:7], v[50:51], v[6:7] neg_lo:[0,1] neg_hi:[0,1]
	v_pk_mul_lo_u16 v9, v3, s4 op_sel_hi:[1,0]
	v_pk_fma_f32 v[28:29], v[6:7], s[0:1], v[14:15] op_sel:[0,0,1] op_sel_hi:[1,0,0]
	v_pk_fma_f32 v[6:7], v[6:7], s[0:1], v[14:15] op_sel:[0,0,1] op_sel_hi:[1,0,0] neg_lo:[1,0,0] neg_hi:[1,0,0]
	v_lshlrev_b32_e32 v3, 3, v54
	v_lshrrev_b32_e32 v4, 16, v9
	v_add3_u32 v3, 0, v4, v3
	v_mul_f32_e32 v4, 0x3f5db3d7, v6
	v_mul_f32_e32 v19, 0xbf5db3d7, v29
	v_pk_add_f32 v[16:17], v[16:17], v[150:151]
	v_fmac_f32_e32 v4, 0.5, v29
	v_fmac_f32_e32 v19, 0.5, v6
	v_add_f32_e32 v14, v26, v4
	v_add_f32_e32 v15, v13, v19
	v_pk_add_f32 v[34:35], v[16:17], v[10:11]
	v_mov_b32_e32 v6, v28
	ds_write2_b64 v3, v[34:35], v[14:15] offset1:10
	v_pk_mul_f32 v[14:15], v[6:7], 0.5 op_sel_hi:[1,0]
	v_pk_add_f32 v[10:11], v[16:17], v[10:11] neg_lo:[0,1] neg_hi:[0,1]
	v_pk_fma_f32 v[6:7], v[6:7], s[0:1], v[14:15] op_sel:[0,0,1] op_sel_hi:[1,1,0] neg_lo:[0,0,1] neg_hi:[0,0,1]
	v_mov_b32_e32 v14, v12
	v_mov_b32_e32 v15, v27
	v_pk_add_f32 v[16:17], v[14:15], v[6:7]
	ds_write2_b64 v3, v[16:17], v[10:11] offset0:20 offset1:30
	v_sub_f32_e32 v10, v26, v4
	v_sub_f32_e32 v11, v13, v19
	v_pk_add_f32 v[6:7], v[14:15], v[6:7] neg_lo:[0,1] neg_hi:[0,1]
	v_mov_b32_e32 v37, v41
	v_mov_b32_e32 v21, v23
	ds_write2_b64 v3, v[10:11], v[6:7] offset0:40 offset1:50
	v_mov_b32_e32 v3, v5
	v_pk_add_f32 v[4:5], v[36:37], v[20:21]
	v_pk_add_f32 v[10:11], v[36:37], v[20:21] neg_lo:[0,1] neg_hi:[0,1]
	v_mov_b32_e32 v33, v45
	v_mov_b32_e32 v19, v25
	v_pk_fma_f32 v[4:5], v[4:5], 0.5, v[48:49] op_sel_hi:[1,0,1] neg_lo:[1,0,0] neg_hi:[1,0,0]
	v_pk_mul_f32 v[10:11], v[10:11], s[0:1] op_sel_hi:[1,0]
	v_pk_add_f32 v[14:15], v[32:33], v[18:19]
	v_pk_add_f32 v[12:13], v[10:11], v[4:5] op_sel:[1,0] op_sel_hi:[0,1]
	v_pk_add_f32 v[4:5], v[4:5], v[10:11] op_sel:[0,1] op_sel_hi:[1,0] neg_lo:[0,1] neg_hi:[0,1]
	v_pk_add_f32 v[10:11], v[18:19], v[2:3]
	v_pk_add_f32 v[14:15], v[14:15], v[2:3]
	v_pk_fma_f32 v[10:11], v[10:11], 0.5, v[32:33] op_sel_hi:[1,0,1] neg_lo:[1,0,0] neg_hi:[1,0,0]
	v_pk_add_f32 v[2:3], v[18:19], v[2:3] neg_lo:[0,1] neg_hi:[0,1]
	v_pk_add_f32 v[6:7], v[48:49], v[36:37]
	v_pk_fma_f32 v[16:17], v[2:3], s[0:1], v[10:11] op_sel:[0,0,1] op_sel_hi:[1,0,0]
	v_pk_fma_f32 v[2:3], v[2:3], s[0:1], v[10:11] op_sel:[0,0,1] op_sel_hi:[1,0,0] neg_lo:[1,0,0] neg_hi:[1,0,0]
	v_pk_add_f32 v[6:7], v[6:7], v[20:21]
	v_mul_f32_e32 v20, 0x3f5db3d7, v2
	v_fmac_f32_e32 v20, 0.5, v17
	v_mul_f32_e32 v17, 0xbf5db3d7, v17
	v_and_b32_e32 v9, 0xffe0, v9
	v_lshlrev_b32_e32 v10, 3, v56
	v_fmac_f32_e32 v17, 0.5, v2
	v_add3_u32 v9, 0, v9, v10
	v_add_f32_e32 v10, v12, v20
	v_add_f32_e32 v11, v5, v17
	v_pk_add_f32 v[18:19], v[6:7], v[14:15]
	v_mov_b32_e32 v2, v16
	ds_write2_b64 v9, v[18:19], v[10:11] offset1:10
	v_pk_mul_f32 v[10:11], v[2:3], 0.5 op_sel_hi:[1,0]
	v_pk_add_f32 v[6:7], v[6:7], v[14:15] neg_lo:[0,1] neg_hi:[0,1]
	v_pk_fma_f32 v[2:3], v[2:3], s[0:1], v[10:11] op_sel:[0,0,1] op_sel_hi:[1,1,0] neg_lo:[0,0,1] neg_hi:[0,0,1]
	s_mov_b32 s0, 0x8889
	v_mov_b32_e32 v10, v4
	v_mov_b32_e32 v11, v13
	v_mul_u32_u24_sdwa v19, v103, s0 dst_sel:DWORD dst_unused:UNUSED_PAD src0_sel:WORD_0 src1_sel:DWORD
	v_pk_add_f32 v[14:15], v[10:11], v[2:3]
	v_lshrrev_b32_e32 v39, 21, v19
	ds_write2_b64 v9, v[14:15], v[6:7] offset0:20 offset1:30
	v_mul_lo_u16_e32 v6, 60, v39
	v_mul_u32_u24_sdwa v18, v102, s0 dst_sel:DWORD dst_unused:UNUSED_PAD src0_sel:WORD_0 src1_sel:DWORD
	v_sub_u16_e32 v6, v103, v6
	v_lshrrev_b32_e32 v47, 21, v18
	v_sub_f32_e32 v4, v12, v20
	v_lshlrev_b32_e32 v41, 3, v6
	v_mul_lo_u16_e32 v6, 60, v47
	v_mul_u32_u24_sdwa v12, v101, s0 dst_sel:DWORD dst_unused:UNUSED_PAD src0_sel:WORD_0 src1_sel:DWORD
	v_sub_u16_e32 v6, v102, v6
	v_lshrrev_b32_e32 v171, 21, v12
	v_sub_f32_e32 v5, v5, v17
	v_lshlrev_b32_e32 v170, 3, v6
	v_mul_lo_u16_e32 v6, 60, v171
	v_mul_u32_u24_sdwa v17, v100, s0 dst_sel:DWORD dst_unused:UNUSED_PAD src0_sel:WORD_0 src1_sel:DWORD
	v_sub_u16_e32 v6, v101, v6
	v_lshrrev_b32_e32 v173, 21, v17
	v_lshlrev_b32_e32 v172, 3, v6
	v_mul_lo_u16_e32 v6, 60, v173
	v_mul_u32_u24_sdwa v16, v99, s0 dst_sel:DWORD dst_unused:UNUSED_PAD src0_sel:WORD_0 src1_sel:DWORD
	v_pk_add_f32 v[2:3], v[10:11], v[2:3] neg_lo:[0,1] neg_hi:[0,1]
	v_mul_u32_u24_sdwa v14, v66, s0 dst_sel:DWORD dst_unused:UNUSED_PAD src0_sel:WORD_0 src1_sel:DWORD
	v_sub_u16_e32 v6, v100, v6
	v_lshrrev_b32_e32 v175, 21, v16
	ds_write2_b64 v9, v[4:5], v[2:3] offset0:40 offset1:50
	v_lshrrev_b32_e32 v4, 21, v14
	v_lshlrev_b32_e32 v174, 3, v6
	v_mul_lo_u16_e32 v6, 60, v175
	v_mul_u32_u24_sdwa v15, v98, s0 dst_sel:DWORD dst_unused:UNUSED_PAD src0_sel:WORD_0 src1_sel:DWORD
	v_mul_lo_u16_e32 v2, 60, v4
	v_sub_u16_e32 v6, v99, v6
	v_lshrrev_b32_e32 v177, 21, v15
	v_sub_u16_e32 v2, v66, v2
	v_lshlrev_b32_e32 v176, 3, v6
	v_mul_lo_u16_e32 v6, 60, v177
	v_mul_u32_u24_sdwa v13, v95, s0 dst_sel:DWORD dst_unused:UNUSED_PAD src0_sel:WORD_0 src1_sel:DWORD
	v_lshlrev_b32_e32 v5, 3, v2
	v_sub_u16_e32 v6, v98, v6
	v_lshrrev_b32_e32 v179, 21, v13
	s_waitcnt lgkmcnt(0)
	s_barrier
	global_load_dwordx2 v[2:3], v5, s[8:9] offset:400
	v_lshlrev_b32_e32 v178, 3, v6
	v_mul_lo_u16_e32 v6, 60, v179
	v_mul_u32_u24_sdwa v10, v94, s0 dst_sel:DWORD dst_unused:UNUSED_PAD src0_sel:WORD_0 src1_sel:DWORD
	v_sub_u16_e32 v6, v95, v6
	v_lshrrev_b32_e32 v181, 21, v10
	v_lshlrev_b32_e32 v180, 3, v6
	v_mul_lo_u16_e32 v6, 60, v181
	v_mul_u32_u24_sdwa v9, v68, s0 dst_sel:DWORD dst_unused:UNUSED_PAD src0_sel:WORD_0 src1_sel:DWORD
	v_sub_u16_e32 v6, v94, v6
	v_lshrrev_b32_e32 v183, 21, v9
	global_load_dwordx2 v[20:21], v41, s[8:9] offset:400
	global_load_dwordx2 v[36:37], v170, s[8:9] offset:400
	;; [unrolled: 1-line block ×4, first 2 shown]
	v_lshlrev_b32_e32 v182, 3, v6
	v_mul_lo_u16_e32 v6, 60, v183
	v_mul_u32_u24_sdwa v7, v96, s0 dst_sel:DWORD dst_unused:UNUSED_PAD src0_sel:WORD_0 src1_sel:DWORD
	v_sub_u16_e32 v6, v68, v6
	v_lshrrev_b32_e32 v185, 21, v7
	v_lshlrev_b32_e32 v184, 3, v6
	v_mul_lo_u16_e32 v6, 60, v185
	v_sub_u16_e32 v6, v96, v6
	v_lshlrev_b32_e32 v186, 3, v6
	v_mul_u32_u24_sdwa v6, v97, s0 dst_sel:DWORD dst_unused:UNUSED_PAD src0_sel:WORD_0 src1_sel:DWORD
	v_lshrrev_b32_e32 v187, 21, v6
	v_mul_lo_u16_e32 v11, 60, v187
	global_load_dwordx2 v[48:49], v176, s[8:9] offset:400
	global_load_dwordx2 v[50:51], v178, s[8:9] offset:400
	;; [unrolled: 1-line block ×4, first 2 shown]
	v_sub_u16_e32 v11, v97, v11
	v_lshlrev_b32_e32 v188, 3, v11
	v_mul_u32_u24_sdwa v11, v88, s0 dst_sel:DWORD dst_unused:UNUSED_PAD src0_sel:WORD_0 src1_sel:DWORD
	v_lshrrev_b32_e32 v189, 21, v11
	s_movk_i32 s0, 0x89
	v_mul_lo_u16_e32 v23, 60, v189
	v_mul_lo_u16_sdwa v31, v92, s0 dst_sel:DWORD dst_unused:UNUSED_PAD src0_sel:BYTE_0 src1_sel:DWORD
	v_sub_u16_e32 v23, v88, v23
	global_load_dwordx2 v[58:59], v184, s[8:9] offset:400
	v_lshrrev_b16_e32 v191, 13, v31
	v_lshlrev_b32_e32 v190, 3, v23
	v_mul_lo_u16_e32 v23, 60, v191
	v_sub_u16_e32 v23, v92, v23
	global_load_dwordx2 v[60:61], v186, s[8:9] offset:400
	global_load_dwordx2 v[106:107], v188, s[8:9] offset:400
	;; [unrolled: 1-line block ×3, first 2 shown]
	v_lshlrev_b32_sdwa v192, v8, v23 dst_sel:DWORD dst_unused:UNUSED_PAD src0_sel:DWORD src1_sel:BYTE_0
	v_mul_lo_u16_sdwa v23, v0, s0 dst_sel:DWORD dst_unused:UNUSED_PAD src0_sel:BYTE_0 src1_sel:DWORD
	v_lshrrev_b16_e32 v23, 13, v23
	v_mul_lo_u16_e32 v25, 60, v23
	v_sub_u16_e32 v25, v0, v25
	global_load_dwordx2 v[110:111], v192, s[8:9] offset:400
	v_lshlrev_b32_sdwa v25, v8, v25 dst_sel:DWORD dst_unused:UNUSED_PAD src0_sel:DWORD src1_sel:BYTE_0
	global_load_dwordx2 v[112:113], v25, s[8:9] offset:400
	ds_read2st64_b64 v[26:29], v104 offset0:56 offset1:58
	ds_read2st64_b64 v[32:35], v104 offset0:52 offset1:54
	v_lshrrev_b32_e32 v11, 22, v11
	v_lshrrev_b16_e32 v31, 14, v31
	s_movk_i32 s0, 0x78
	v_cmp_gt_u32_e64 s[0:1], s0, v0
	s_waitcnt vmcnt(14) lgkmcnt(1)
	v_pk_mul_f32 v[114:115], v[28:29], v[2:3] op_sel:[0,1]
	s_nop 0
	v_pk_fma_f32 v[116:117], v[28:29], v[2:3], v[114:115] op_sel:[0,0,1] op_sel_hi:[1,1,0] neg_lo:[0,0,1] neg_hi:[0,0,1]
	v_pk_fma_f32 v[2:3], v[28:29], v[2:3], v[114:115] op_sel:[0,0,1] op_sel_hi:[1,0,0]
	s_waitcnt vmcnt(13)
	v_pk_mul_f32 v[28:29], v[26:27], v[20:21] op_sel:[0,1]
	s_nop 0
	v_pk_fma_f32 v[114:115], v[26:27], v[20:21], v[28:29] op_sel:[0,0,1] op_sel_hi:[1,1,0] neg_lo:[0,0,1] neg_hi:[0,0,1]
	v_pk_fma_f32 v[118:119], v[26:27], v[20:21], v[28:29] op_sel:[0,0,1] op_sel_hi:[1,0,0]
	s_waitcnt vmcnt(12) lgkmcnt(0)
	v_pk_mul_f32 v[20:21], v[34:35], v[36:37] op_sel:[0,1]
	ds_read2st64_b64 v[26:29], v104 offset0:48 offset1:50
	v_pk_fma_f32 v[120:121], v[34:35], v[36:37], v[20:21] op_sel:[0,0,1] op_sel_hi:[1,1,0] neg_lo:[0,0,1] neg_hi:[0,0,1]
	v_pk_fma_f32 v[36:37], v[34:35], v[36:37], v[20:21] op_sel:[0,0,1] op_sel_hi:[1,0,0]
	s_waitcnt vmcnt(11)
	v_pk_mul_f32 v[20:21], v[32:33], v[42:43] op_sel:[0,1]
	v_mul_u32_u24_e32 v2, 0x3c0, v23
	v_pk_fma_f32 v[122:123], v[32:33], v[42:43], v[20:21] op_sel:[0,0,1] op_sel_hi:[1,1,0] neg_lo:[0,0,1] neg_hi:[0,0,1]
	v_pk_fma_f32 v[42:43], v[32:33], v[42:43], v[20:21] op_sel:[0,0,1] op_sel_hi:[1,0,0]
	ds_read2st64_b64 v[32:35], v104 offset0:44 offset1:46
	s_waitcnt vmcnt(10) lgkmcnt(1)
	v_pk_mul_f32 v[20:21], v[28:29], v[44:45] op_sel:[0,1]
	v_add3_u32 v2, 0, v2, v25
	v_pk_fma_f32 v[124:125], v[28:29], v[44:45], v[20:21] op_sel:[0,0,1] op_sel_hi:[1,1,0] neg_lo:[0,0,1] neg_hi:[0,0,1]
	v_pk_fma_f32 v[44:45], v[28:29], v[44:45], v[20:21] op_sel:[0,0,1] op_sel_hi:[1,0,0]
	s_waitcnt vmcnt(9)
	v_pk_mul_f32 v[20:21], v[26:27], v[48:49] op_sel:[0,1]
	v_lshl_add_u32 v25, v101, 3, 0
	v_pk_fma_f32 v[126:127], v[26:27], v[48:49], v[20:21] op_sel:[0,0,1] op_sel_hi:[1,1,0] neg_lo:[0,0,1] neg_hi:[0,0,1]
	v_pk_fma_f32 v[48:49], v[26:27], v[48:49], v[20:21] op_sel:[0,0,1] op_sel_hi:[1,0,0]
	s_waitcnt vmcnt(8) lgkmcnt(0)
	v_pk_mul_f32 v[20:21], v[34:35], v[50:51] op_sel:[0,1]
	ds_read2st64_b64 v[26:29], v104 offset0:40 offset1:42
	v_pk_fma_f32 v[128:129], v[34:35], v[50:51], v[20:21] op_sel:[0,0,1] op_sel_hi:[1,1,0] neg_lo:[0,0,1] neg_hi:[0,0,1]
	v_pk_fma_f32 v[50:51], v[34:35], v[50:51], v[20:21] op_sel:[0,0,1] op_sel_hi:[1,0,0]
	s_waitcnt vmcnt(7)
	v_pk_mul_f32 v[20:21], v[32:33], v[54:55] op_sel:[0,1]
	v_lshl_add_u32 v23, v102, 3, 0
	v_pk_fma_f32 v[130:131], v[32:33], v[54:55], v[20:21] op_sel:[0,0,1] op_sel_hi:[1,1,0] neg_lo:[0,0,1] neg_hi:[0,0,1]
	v_pk_fma_f32 v[54:55], v[32:33], v[54:55], v[20:21] op_sel:[0,0,1] op_sel_hi:[1,0,0]
	ds_read2st64_b64 v[32:35], v104 offset0:36 offset1:38
	s_waitcnt vmcnt(6) lgkmcnt(1)
	v_pk_mul_f32 v[20:21], v[28:29], v[56:57] op_sel:[0,1]
	v_mov_b32_e32 v131, v55
	v_pk_fma_f32 v[132:133], v[28:29], v[56:57], v[20:21] op_sel:[0,0,1] op_sel_hi:[1,1,0] neg_lo:[0,0,1] neg_hi:[0,0,1]
	v_pk_fma_f32 v[56:57], v[28:29], v[56:57], v[20:21] op_sel:[0,0,1] op_sel_hi:[1,0,0]
	s_waitcnt vmcnt(5)
	v_pk_mul_f32 v[20:21], v[26:27], v[58:59] op_sel:[0,1]
	v_mov_b32_e32 v133, v57
	v_pk_fma_f32 v[134:135], v[26:27], v[58:59], v[20:21] op_sel:[0,0,1] op_sel_hi:[1,1,0] neg_lo:[0,0,1] neg_hi:[0,0,1]
	v_pk_fma_f32 v[58:59], v[26:27], v[58:59], v[20:21] op_sel:[0,0,1] op_sel_hi:[1,0,0]
	s_waitcnt vmcnt(4) lgkmcnt(0)
	v_pk_mul_f32 v[20:21], v[34:35], v[60:61] op_sel:[0,1]
	ds_read2st64_b64 v[26:29], v104 offset0:32 offset1:34
	v_pk_fma_f32 v[136:137], v[34:35], v[60:61], v[20:21] op_sel:[0,0,1] op_sel_hi:[1,1,0] neg_lo:[0,0,1] neg_hi:[0,0,1]
	v_pk_fma_f32 v[60:61], v[34:35], v[60:61], v[20:21] op_sel:[0,0,1] op_sel_hi:[1,0,0]
	s_waitcnt vmcnt(3)
	v_pk_mul_f32 v[20:21], v[32:33], v[106:107] op_sel:[0,1]
	v_mov_b32_e32 v137, v61
	v_pk_fma_f32 v[138:139], v[32:33], v[106:107], v[20:21] op_sel:[0,0,1] op_sel_hi:[1,1,0] neg_lo:[0,0,1] neg_hi:[0,0,1]
	v_pk_fma_f32 v[106:107], v[32:33], v[106:107], v[20:21] op_sel:[0,0,1] op_sel_hi:[1,0,0]
	ds_read2st64_b64 v[32:35], v104 offset1:30
	s_waitcnt vmcnt(2) lgkmcnt(1)
	v_pk_mul_f32 v[20:21], v[28:29], v[108:109] op_sel:[0,1]
	v_mov_b32_e32 v139, v107
	v_pk_fma_f32 v[140:141], v[28:29], v[108:109], v[20:21] op_sel:[0,0,1] op_sel_hi:[1,1,0] neg_lo:[0,0,1] neg_hi:[0,0,1]
	v_pk_fma_f32 v[108:109], v[28:29], v[108:109], v[20:21] op_sel:[0,0,1] op_sel_hi:[1,0,0]
	s_waitcnt vmcnt(1)
	v_pk_mul_f32 v[20:21], v[110:111], v[26:27] op_sel:[0,1]
	v_lshl_add_u32 v29, v94, 3, 0
	v_pk_fma_f32 v[142:143], v[110:111], v[26:27], v[20:21] op_sel:[0,0,1] op_sel_hi:[1,1,0] neg_lo:[0,0,1] neg_hi:[0,0,1]
	v_pk_fma_f32 v[110:111], v[110:111], v[26:27], v[20:21] op_sel:[0,0,1] op_sel_hi:[1,0,0]
	s_waitcnt vmcnt(0) lgkmcnt(0)
	v_pk_mul_f32 v[20:21], v[112:113], v[34:35] op_sel:[0,1]
	v_lshl_add_u32 v28, v95, 3, 0
	v_pk_fma_f32 v[26:27], v[112:113], v[34:35], v[20:21] op_sel:[0,0,1] op_sel_hi:[1,1,0] neg_lo:[0,0,1] neg_hi:[0,0,1]
	v_pk_fma_f32 v[20:21], v[112:113], v[34:35], v[20:21] op_sel:[0,0,1] op_sel_hi:[1,0,0]
	v_mov_b32_e32 v143, v111
	v_mov_b32_e32 v27, v21
	v_lshl_add_u32 v20, v66, 3, 0
	v_pk_add_f32 v[34:35], v[32:33], v[26:27] neg_lo:[0,1] neg_hi:[0,1]
	v_lshl_add_u32 v27, v98, 3, 0
	v_lshl_add_u32 v26, v99, 3, 0
	;; [unrolled: 1-line block ×3, first 2 shown]
	ds_read_b64 v[112:113], v20
	ds_read_b64 v[144:145], v21
	;; [unrolled: 1-line block ×14, first 2 shown]
	v_pk_fma_f32 v[32:33], v[32:33], 2.0, v[34:35] op_sel_hi:[1,0,1] neg_lo:[0,0,1] neg_hi:[0,0,1]
	s_waitcnt lgkmcnt(0)
	s_barrier
	ds_write2_b64 v2, v[32:33], v[34:35] offset1:60
	v_mul_u32_u24_e32 v2, 0x3c0, v191
	v_pk_add_f32 v[32:33], v[168:169], v[142:143] neg_lo:[0,1] neg_hi:[0,1]
	v_add3_u32 v2, 0, v2, v192
	v_pk_fma_f32 v[34:35], v[168:169], 2.0, v[32:33] op_sel_hi:[1,0,1] neg_lo:[0,0,1] neg_hi:[0,0,1]
	ds_write2_b64 v2, v[34:35], v[32:33] offset1:60
	v_perm_b32 v2, v187, v189, s10
	v_pk_mul_lo_u16 v2, v2, s5 op_sel_hi:[1,0]
	v_mov_b32_e32 v141, v109
	v_and_b32_e32 v32, 0xffc0, v2
	v_add3_u32 v36, 0, v32, v190
	v_pk_add_f32 v[32:33], v[166:167], v[140:141] neg_lo:[0,1] neg_hi:[0,1]
	v_lshrrev_b32_e32 v2, 16, v2
	v_pk_fma_f32 v[34:35], v[166:167], 2.0, v[32:33] op_sel_hi:[1,0,1] neg_lo:[0,0,1] neg_hi:[0,0,1]
	ds_write2_b64 v36, v[34:35], v[32:33] offset1:60
	v_pk_add_f32 v[32:33], v[160:161], v[138:139] neg_lo:[0,1] neg_hi:[0,1]
	v_add3_u32 v2, 0, v2, v188
	v_pk_fma_f32 v[34:35], v[160:161], 2.0, v[32:33] op_sel_hi:[1,0,1] neg_lo:[0,0,1] neg_hi:[0,0,1]
	ds_write2_b64 v2, v[34:35], v[32:33] offset1:60
	v_mul_u32_u24_e32 v2, 0x3c0, v185
	v_pk_add_f32 v[32:33], v[158:159], v[136:137] neg_lo:[0,1] neg_hi:[0,1]
	v_add3_u32 v2, 0, v2, v186
	v_pk_fma_f32 v[34:35], v[158:159], 2.0, v[32:33] op_sel_hi:[1,0,1] neg_lo:[0,0,1] neg_hi:[0,0,1]
	v_mov_b32_e32 v135, v59
	ds_write2_b64 v2, v[34:35], v[32:33] offset1:60
	v_mul_u32_u24_e32 v2, 0x3c0, v183
	v_pk_add_f32 v[32:33], v[164:165], v[134:135] neg_lo:[0,1] neg_hi:[0,1]
	v_add3_u32 v2, 0, v2, v184
	v_pk_fma_f32 v[34:35], v[164:165], 2.0, v[32:33] op_sel_hi:[1,0,1] neg_lo:[0,0,1] neg_hi:[0,0,1]
	ds_write2_b64 v2, v[34:35], v[32:33] offset1:60
	v_perm_b32 v2, v179, v181, s10
	v_pk_mul_lo_u16 v2, v2, s5 op_sel_hi:[1,0]
	v_mov_b32_e32 v129, v51
	v_and_b32_e32 v32, 0xffc0, v2
	v_add3_u32 v36, 0, v32, v182
	v_pk_add_f32 v[32:33], v[156:157], v[132:133] neg_lo:[0,1] neg_hi:[0,1]
	v_lshrrev_b32_e32 v2, 16, v2
	v_pk_fma_f32 v[34:35], v[156:157], 2.0, v[32:33] op_sel_hi:[1,0,1] neg_lo:[0,0,1] neg_hi:[0,0,1]
	ds_write2_b64 v36, v[34:35], v[32:33] offset1:60
	v_pk_add_f32 v[32:33], v[154:155], v[130:131] neg_lo:[0,1] neg_hi:[0,1]
	v_add3_u32 v2, 0, v2, v180
	v_pk_fma_f32 v[34:35], v[154:155], 2.0, v[32:33] op_sel_hi:[1,0,1] neg_lo:[0,0,1] neg_hi:[0,0,1]
	ds_write2_b64 v2, v[34:35], v[32:33] offset1:60
	v_perm_b32 v2, v175, v177, s10
	v_pk_mul_lo_u16 v2, v2, s5 op_sel_hi:[1,0]
	v_mov_b32_e32 v127, v49
	v_and_b32_e32 v32, 0xffc0, v2
	v_add3_u32 v36, 0, v32, v178
	v_pk_add_f32 v[32:33], v[152:153], v[128:129] neg_lo:[0,1] neg_hi:[0,1]
	v_lshrrev_b32_e32 v2, 16, v2
	v_pk_fma_f32 v[34:35], v[152:153], 2.0, v[32:33] op_sel_hi:[1,0,1] neg_lo:[0,0,1] neg_hi:[0,0,1]
	ds_write2_b64 v36, v[34:35], v[32:33] offset1:60
	v_pk_add_f32 v[32:33], v[150:151], v[126:127] neg_lo:[0,1] neg_hi:[0,1]
	v_add3_u32 v2, 0, v2, v176
	v_pk_fma_f32 v[34:35], v[150:151], 2.0, v[32:33] op_sel_hi:[1,0,1] neg_lo:[0,0,1] neg_hi:[0,0,1]
	ds_write2_b64 v2, v[34:35], v[32:33] offset1:60
	v_perm_b32 v2, v171, v173, s10
	v_pk_mul_lo_u16 v2, v2, s5 op_sel_hi:[1,0]
	v_mov_b32_e32 v125, v45
	v_and_b32_e32 v32, 0xffc0, v2
	v_add3_u32 v36, 0, v32, v174
	v_pk_add_f32 v[32:33], v[162:163], v[124:125] neg_lo:[0,1] neg_hi:[0,1]
	v_mov_b32_e32 v123, v43
	v_pk_fma_f32 v[34:35], v[162:163], 2.0, v[32:33] op_sel_hi:[1,0,1] neg_lo:[0,0,1] neg_hi:[0,0,1]
	ds_write2_b64 v36, v[34:35], v[32:33] offset1:60
	v_lshrrev_b32_e32 v2, 16, v2
	v_pk_add_f32 v[32:33], v[148:149], v[122:123] neg_lo:[0,1] neg_hi:[0,1]
	v_add3_u32 v2, 0, v2, v172
	v_pk_fma_f32 v[34:35], v[148:149], 2.0, v[32:33] op_sel_hi:[1,0,1] neg_lo:[0,0,1] neg_hi:[0,0,1]
	ds_write2_b64 v2, v[34:35], v[32:33] offset1:60
	v_perm_b32 v2, v39, v47, s10
	v_pk_mul_lo_u16 v2, v2, s5 op_sel_hi:[1,0]
	v_mov_b32_e32 v121, v37
	v_and_b32_e32 v32, 0xffc0, v2
	v_add3_u32 v36, 0, v32, v170
	v_pk_add_f32 v[32:33], v[146:147], v[120:121] neg_lo:[0,1] neg_hi:[0,1]
	v_mov_b32_e32 v115, v119
	v_pk_fma_f32 v[34:35], v[146:147], 2.0, v[32:33] op_sel_hi:[1,0,1] neg_lo:[0,0,1] neg_hi:[0,0,1]
	ds_write2_b64 v36, v[34:35], v[32:33] offset1:60
	v_lshrrev_b32_e32 v2, 16, v2
	v_pk_add_f32 v[32:33], v[144:145], v[114:115] neg_lo:[0,1] neg_hi:[0,1]
	v_add3_u32 v2, 0, v2, v41
	v_pk_fma_f32 v[34:35], v[144:145], 2.0, v[32:33] op_sel_hi:[1,0,1] neg_lo:[0,0,1] neg_hi:[0,0,1]
	ds_write2_b64 v2, v[34:35], v[32:33] offset1:60
	v_mov_b32_e32 v117, v3
	v_mul_u32_u24_e32 v2, 0x3c0, v4
	v_add3_u32 v32, 0, v2, v5
	v_pk_add_f32 v[2:3], v[112:113], v[116:117] neg_lo:[0,1] neg_hi:[0,1]
	v_lshrrev_b32_e32 v39, 22, v14
	v_pk_fma_f32 v[4:5], v[112:113], 2.0, v[2:3] op_sel_hi:[1,0,1] neg_lo:[0,0,1] neg_hi:[0,0,1]
	ds_write2_b64 v32, v[4:5], v[2:3] offset1:60
	v_mul_lo_u16_e32 v2, 0x78, v39
	v_sub_u16_e32 v2, v66, v2
	v_lshrrev_b32_e32 v47, 22, v19
	v_lshlrev_b32_e32 v41, 3, v2
	v_mul_lo_u16_e32 v2, 0x78, v47
	v_sub_u16_e32 v2, v103, v2
	v_lshrrev_b32_e32 v171, 22, v18
	v_lshlrev_b32_e32 v170, 3, v2
	;; [unrolled: 4-line block ×4, first 2 shown]
	v_mul_lo_u16_e32 v2, 0x78, v175
	s_waitcnt lgkmcnt(0)
	s_barrier
	global_load_dwordx2 v[4:5], v41, s[8:9] offset:880
	v_sub_u16_e32 v2, v100, v2
	v_lshrrev_b32_e32 v177, 22, v16
	v_lshlrev_b32_e32 v176, 3, v2
	v_mul_lo_u16_e32 v2, 0x78, v177
	v_sub_u16_e32 v2, v99, v2
	v_lshrrev_b32_e32 v179, 22, v15
	v_lshlrev_b32_e32 v178, 3, v2
	v_mul_lo_u16_e32 v2, 0x78, v179
	global_load_dwordx2 v[36:37], v170, s[8:9] offset:880
	global_load_dwordx2 v[48:49], v172, s[8:9] offset:880
	;; [unrolled: 1-line block ×4, first 2 shown]
	v_sub_u16_e32 v2, v98, v2
	v_lshrrev_b32_e32 v181, 22, v13
	v_lshlrev_b32_e32 v180, 3, v2
	v_mul_lo_u16_e32 v2, 0x78, v181
	v_sub_u16_e32 v2, v95, v2
	v_lshrrev_b32_e32 v183, 22, v10
	v_lshlrev_b32_e32 v182, 3, v2
	v_mul_lo_u16_e32 v2, 0x78, v183
	;; [unrolled: 4-line block ×3, first 2 shown]
	v_sub_u16_e32 v2, v68, v2
	v_lshrrev_b32_e32 v187, 22, v7
	global_load_dwordx2 v[56:57], v178, s[8:9] offset:880
	global_load_dwordx2 v[58:59], v180, s[8:9] offset:880
	;; [unrolled: 1-line block ×4, first 2 shown]
	v_lshlrev_b32_e32 v186, 3, v2
	v_mul_lo_u16_e32 v2, 0x78, v187
	v_sub_u16_e32 v2, v96, v2
	v_lshrrev_b32_e32 v189, 22, v6
	v_lshlrev_b32_e32 v188, 3, v2
	v_mul_lo_u16_e32 v2, 0x78, v189
	v_sub_u16_e32 v2, v97, v2
	global_load_dwordx2 v[108:109], v186, s[8:9] offset:880
	v_lshlrev_b32_e32 v190, 3, v2
	v_mul_lo_u16_e32 v2, 0x78, v11
	v_sub_u16_e32 v2, v88, v2
	v_lshlrev_b32_e32 v191, 3, v2
	v_mul_lo_u16_e32 v2, 0x78, v31
	v_sub_u16_e32 v2, v92, v2
	v_lshlrev_b32_sdwa v8, v8, v2 dst_sel:DWORD dst_unused:UNUSED_PAD src0_sel:DWORD src1_sel:BYTE_0
	v_add_u32_e32 v2, 0xffffff88, v0
	global_load_dwordx2 v[110:111], v188, s[8:9] offset:880
	global_load_dwordx2 v[112:113], v190, s[8:9] offset:880
	v_cndmask_b32_e64 v2, v2, v0, s[0:1]
	v_mov_b32_e32 v3, 0
	global_load_dwordx2 v[114:115], v191, s[8:9] offset:880
	v_lshl_add_u64 v[32:33], v[2:3], 3, s[8:9]
	global_load_dwordx2 v[118:119], v[32:33], off offset:880
	global_load_dwordx2 v[116:117], v8, s[8:9] offset:880
	ds_read2st64_b64 v[32:35], v104 offset0:56 offset1:58
	ds_read2st64_b64 v[42:45], v104 offset0:52 offset1:54
	s_movk_i32 s0, 0x77
	v_cmp_lt_u32_e64 s[0:1], s0, v0
	v_lshlrev_b32_e32 v2, 3, v2
	s_waitcnt vmcnt(14) lgkmcnt(1)
	v_pk_mul_f32 v[120:121], v[34:35], v[4:5] op_sel:[0,1]
	s_nop 0
	v_pk_fma_f32 v[122:123], v[34:35], v[4:5], v[120:121] op_sel:[0,0,1] op_sel_hi:[1,1,0] neg_lo:[0,0,1] neg_hi:[0,0,1]
	v_pk_fma_f32 v[4:5], v[34:35], v[4:5], v[120:121] op_sel:[0,0,1] op_sel_hi:[1,0,0]
	s_waitcnt vmcnt(13)
	v_pk_mul_f32 v[34:35], v[32:33], v[36:37] op_sel:[0,1]
	s_nop 0
	v_pk_fma_f32 v[120:121], v[32:33], v[36:37], v[34:35] op_sel:[0,0,1] op_sel_hi:[1,1,0] neg_lo:[0,0,1] neg_hi:[0,0,1]
	v_pk_fma_f32 v[36:37], v[32:33], v[36:37], v[34:35] op_sel:[0,0,1] op_sel_hi:[1,0,0]
	ds_read2st64_b64 v[32:35], v104 offset0:48 offset1:50
	s_waitcnt vmcnt(12) lgkmcnt(1)
	v_pk_mul_f32 v[124:125], v[44:45], v[48:49] op_sel:[0,1]
	v_mov_b32_e32 v4, 0x780
	v_pk_fma_f32 v[126:127], v[44:45], v[48:49], v[124:125] op_sel:[0,0,1] op_sel_hi:[1,1,0] neg_lo:[0,0,1] neg_hi:[0,0,1]
	v_pk_fma_f32 v[48:49], v[44:45], v[48:49], v[124:125] op_sel:[0,0,1] op_sel_hi:[1,0,0]
	s_waitcnt vmcnt(11)
	v_pk_mul_f32 v[44:45], v[42:43], v[50:51] op_sel:[0,1]
	s_waitcnt vmcnt(10) lgkmcnt(0)
	v_pk_mul_f32 v[128:129], v[34:35], v[54:55] op_sel:[0,1]
	v_pk_fma_f32 v[124:125], v[42:43], v[50:51], v[44:45] op_sel:[0,0,1] op_sel_hi:[1,1,0] neg_lo:[0,0,1] neg_hi:[0,0,1]
	v_pk_fma_f32 v[50:51], v[42:43], v[50:51], v[44:45] op_sel:[0,0,1] op_sel_hi:[1,0,0]
	ds_read2st64_b64 v[42:45], v104 offset0:44 offset1:46
	v_pk_fma_f32 v[130:131], v[34:35], v[54:55], v[128:129] op_sel:[0,0,1] op_sel_hi:[1,1,0] neg_lo:[0,0,1] neg_hi:[0,0,1]
	v_pk_fma_f32 v[54:55], v[34:35], v[54:55], v[128:129] op_sel:[0,0,1] op_sel_hi:[1,0,0]
	s_waitcnt vmcnt(9)
	v_pk_mul_f32 v[34:35], v[32:33], v[56:57] op_sel:[0,1]
	v_cndmask_b32_e64 v4, 0, v4, s[0:1]
	v_pk_fma_f32 v[128:129], v[32:33], v[56:57], v[34:35] op_sel:[0,0,1] op_sel_hi:[1,1,0] neg_lo:[0,0,1] neg_hi:[0,0,1]
	v_pk_fma_f32 v[56:57], v[32:33], v[56:57], v[34:35] op_sel:[0,0,1] op_sel_hi:[1,0,0]
	ds_read2st64_b64 v[32:35], v104 offset0:40 offset1:42
	s_waitcnt vmcnt(8) lgkmcnt(1)
	v_pk_mul_f32 v[132:133], v[44:45], v[58:59] op_sel:[0,1]
	v_add3_u32 v2, 0, v4, v2
	v_pk_fma_f32 v[134:135], v[44:45], v[58:59], v[132:133] op_sel:[0,0,1] op_sel_hi:[1,1,0] neg_lo:[0,0,1] neg_hi:[0,0,1]
	v_pk_fma_f32 v[58:59], v[44:45], v[58:59], v[132:133] op_sel:[0,0,1] op_sel_hi:[1,0,0]
	s_waitcnt vmcnt(7)
	v_pk_mul_f32 v[44:45], v[42:43], v[60:61] op_sel:[0,1]
	s_waitcnt vmcnt(6) lgkmcnt(0)
	v_pk_mul_f32 v[136:137], v[34:35], v[106:107] op_sel:[0,1]
	v_pk_fma_f32 v[132:133], v[42:43], v[60:61], v[44:45] op_sel:[0,0,1] op_sel_hi:[1,1,0] neg_lo:[0,0,1] neg_hi:[0,0,1]
	v_pk_fma_f32 v[60:61], v[42:43], v[60:61], v[44:45] op_sel:[0,0,1] op_sel_hi:[1,0,0]
	ds_read2st64_b64 v[42:45], v104 offset0:36 offset1:38
	v_pk_fma_f32 v[138:139], v[34:35], v[106:107], v[136:137] op_sel:[0,0,1] op_sel_hi:[1,1,0] neg_lo:[0,0,1] neg_hi:[0,0,1]
	v_pk_fma_f32 v[106:107], v[34:35], v[106:107], v[136:137] op_sel:[0,0,1] op_sel_hi:[1,0,0]
	s_waitcnt vmcnt(5)
	v_pk_mul_f32 v[34:35], v[32:33], v[108:109] op_sel:[0,1]
	s_movk_i32 s0, 0x780
	v_pk_fma_f32 v[136:137], v[32:33], v[108:109], v[34:35] op_sel:[0,0,1] op_sel_hi:[1,1,0] neg_lo:[0,0,1] neg_hi:[0,0,1]
	v_pk_fma_f32 v[108:109], v[32:33], v[108:109], v[34:35] op_sel:[0,0,1] op_sel_hi:[1,0,0]
	ds_read2st64_b64 v[32:35], v104 offset0:32 offset1:34
	s_waitcnt vmcnt(4) lgkmcnt(1)
	v_pk_mul_f32 v[140:141], v[44:45], v[110:111] op_sel:[0,1]
	v_mov_b32_e32 v137, v109
	v_pk_fma_f32 v[142:143], v[44:45], v[110:111], v[140:141] op_sel:[0,0,1] op_sel_hi:[1,1,0] neg_lo:[0,0,1] neg_hi:[0,0,1]
	v_pk_fma_f32 v[44:45], v[44:45], v[110:111], v[140:141] op_sel:[0,0,1] op_sel_hi:[1,0,0]
	s_waitcnt vmcnt(3)
	v_pk_mul_f32 v[110:111], v[42:43], v[112:113] op_sel:[0,1]
	v_mov_b32_e32 v143, v45
	v_pk_fma_f32 v[140:141], v[42:43], v[112:113], v[110:111] op_sel:[0,0,1] op_sel_hi:[1,1,0] neg_lo:[0,0,1] neg_hi:[0,0,1]
	v_pk_fma_f32 v[42:43], v[42:43], v[112:113], v[110:111] op_sel:[0,0,1] op_sel_hi:[1,0,0]
	s_waitcnt vmcnt(2) lgkmcnt(0)
	v_pk_mul_f32 v[110:111], v[114:115], v[34:35] op_sel:[0,1]
	v_mov_b32_e32 v141, v43
	v_pk_fma_f32 v[112:113], v[114:115], v[34:35], v[110:111] op_sel:[0,0,1] op_sel_hi:[1,1,0] neg_lo:[0,0,1] neg_hi:[0,0,1]
	v_pk_fma_f32 v[110:111], v[114:115], v[34:35], v[110:111] op_sel:[0,0,1] op_sel_hi:[1,0,0]
	s_waitcnt vmcnt(0)
	v_pk_mul_f32 v[34:35], v[116:117], v[32:33] op_sel:[0,1]
	v_mov_b32_e32 v113, v111
	v_pk_fma_f32 v[114:115], v[116:117], v[32:33], v[34:35] op_sel:[0,0,1] op_sel_hi:[1,1,0] neg_lo:[0,0,1] neg_hi:[0,0,1]
	v_pk_fma_f32 v[116:117], v[116:117], v[32:33], v[34:35] op_sel:[0,0,1] op_sel_hi:[1,0,0]
	ds_read2st64_b64 v[32:35], v104 offset1:30
	v_mov_b32_e32 v115, v117
	v_mov_b32_e32 v139, v107
	;; [unrolled: 1-line block ×4, first 2 shown]
	s_waitcnt lgkmcnt(0)
	v_pk_mul_f32 v[144:145], v[118:119], v[34:35] op_sel:[0,1]
	v_mov_b32_e32 v129, v57
	v_pk_fma_f32 v[146:147], v[118:119], v[34:35], v[144:145] op_sel:[0,0,1] op_sel_hi:[1,1,0] neg_lo:[0,0,1] neg_hi:[0,0,1]
	v_pk_fma_f32 v[34:35], v[118:119], v[34:35], v[144:145] op_sel:[0,0,1] op_sel_hi:[1,0,0]
	v_mov_b32_e32 v131, v55
	v_mov_b32_e32 v147, v35
	v_pk_add_f32 v[34:35], v[32:33], v[146:147] neg_lo:[0,1] neg_hi:[0,1]
	ds_read_b64 v[118:119], v20
	ds_read_b64 v[144:145], v21
	;; [unrolled: 1-line block ×14, first 2 shown]
	v_pk_fma_f32 v[32:33], v[32:33], 2.0, v[34:35] op_sel_hi:[1,0,1] neg_lo:[0,0,1] neg_hi:[0,0,1]
	s_waitcnt lgkmcnt(0)
	s_barrier
	ds_write2_b64 v2, v[32:33], v[34:35] offset1:120
	v_mul_u32_u24_e32 v2, 0x780, v31
	v_pk_add_f32 v[32:33], v[168:169], v[114:115] neg_lo:[0,1] neg_hi:[0,1]
	v_add3_u32 v2, 0, v2, v8
	v_pk_fma_f32 v[34:35], v[168:169], 2.0, v[32:33] op_sel_hi:[1,0,1] neg_lo:[0,0,1] neg_hi:[0,0,1]
	ds_write2_b64 v2, v[34:35], v[32:33] offset1:120
	v_mul_u32_u24_e32 v2, 0x780, v11
	v_pk_add_f32 v[32:33], v[166:167], v[112:113] neg_lo:[0,1] neg_hi:[0,1]
	v_add3_u32 v2, 0, v2, v191
	v_pk_fma_f32 v[34:35], v[166:167], 2.0, v[32:33] op_sel_hi:[1,0,1] neg_lo:[0,0,1] neg_hi:[0,0,1]
	ds_write2_b64 v2, v[34:35], v[32:33] offset1:120
	v_perm_b32 v2, v189, v187, s10
	v_pk_mul_lo_u16 v2, v2, s0 op_sel_hi:[1,0]
	v_pk_add_f32 v[32:33], v[160:161], v[140:141] neg_lo:[0,1] neg_hi:[0,1]
	v_lshrrev_b32_e32 v4, 16, v2
	v_add3_u32 v4, 0, v4, v190
	v_pk_fma_f32 v[34:35], v[160:161], 2.0, v[32:33] op_sel_hi:[1,0,1] neg_lo:[0,0,1] neg_hi:[0,0,1]
	ds_write2_b64 v4, v[34:35], v[32:33] offset1:120
	v_and_b32_e32 v2, 0xff80, v2
	v_pk_add_f32 v[32:33], v[158:159], v[142:143] neg_lo:[0,1] neg_hi:[0,1]
	v_add3_u32 v2, 0, v2, v188
	v_pk_fma_f32 v[34:35], v[158:159], 2.0, v[32:33] op_sel_hi:[1,0,1] neg_lo:[0,0,1] neg_hi:[0,0,1]
	ds_write2_b64 v2, v[34:35], v[32:33] offset1:120
	v_perm_b32 v2, v183, v185, s10
	v_pk_mul_lo_u16 v2, v2, s0 op_sel_hi:[1,0]
	v_pk_add_f32 v[32:33], v[164:165], v[136:137] neg_lo:[0,1] neg_hi:[0,1]
	v_and_b32_e32 v4, 0xff80, v2
	v_add3_u32 v4, 0, v4, v186
	v_pk_fma_f32 v[34:35], v[164:165], 2.0, v[32:33] op_sel_hi:[1,0,1] neg_lo:[0,0,1] neg_hi:[0,0,1]
	ds_write2_b64 v4, v[34:35], v[32:33] offset1:120
	v_lshrrev_b32_e32 v2, 16, v2
	v_pk_add_f32 v[32:33], v[156:157], v[138:139] neg_lo:[0,1] neg_hi:[0,1]
	v_add3_u32 v2, 0, v2, v184
	v_pk_fma_f32 v[34:35], v[156:157], 2.0, v[32:33] op_sel_hi:[1,0,1] neg_lo:[0,0,1] neg_hi:[0,0,1]
	ds_write2_b64 v2, v[34:35], v[32:33] offset1:120
	v_mul_u32_u24_e32 v2, 0x780, v181
	v_pk_add_f32 v[32:33], v[154:155], v[132:133] neg_lo:[0,1] neg_hi:[0,1]
	v_add3_u32 v2, 0, v2, v182
	v_pk_fma_f32 v[34:35], v[154:155], 2.0, v[32:33] op_sel_hi:[1,0,1] neg_lo:[0,0,1] neg_hi:[0,0,1]
	ds_write2_b64 v2, v[34:35], v[32:33] offset1:120
	v_mul_u32_u24_e32 v2, 0x780, v179
	;; [unrolled: 5-line block ×4, first 2 shown]
	v_pk_add_f32 v[32:33], v[162:163], v[130:131] neg_lo:[0,1] neg_hi:[0,1]
	v_add3_u32 v2, 0, v2, v176
	v_pk_fma_f32 v[34:35], v[162:163], 2.0, v[32:33] op_sel_hi:[1,0,1] neg_lo:[0,0,1] neg_hi:[0,0,1]
	v_mov_b32_e32 v125, v51
	ds_write2_b64 v2, v[34:35], v[32:33] offset1:120
	v_mul_u32_u24_e32 v2, 0x780, v173
	v_pk_add_f32 v[32:33], v[148:149], v[124:125] neg_lo:[0,1] neg_hi:[0,1]
	v_add3_u32 v2, 0, v2, v174
	v_pk_fma_f32 v[34:35], v[148:149], 2.0, v[32:33] op_sel_hi:[1,0,1] neg_lo:[0,0,1] neg_hi:[0,0,1]
	v_mov_b32_e32 v127, v49
	ds_write2_b64 v2, v[34:35], v[32:33] offset1:120
	v_mul_u32_u24_e32 v2, 0x780, v171
	;; [unrolled: 6-line block ×4, first 2 shown]
	v_pk_add_f32 v[4:5], v[118:119], v[122:123] neg_lo:[0,1] neg_hi:[0,1]
	v_add3_u32 v2, 0, v2, v41
	v_pk_fma_f32 v[32:33], v[118:119], 2.0, v[4:5] op_sel_hi:[1,0,1] neg_lo:[0,0,1] neg_hi:[0,0,1]
	ds_write2_b64 v2, v[32:33], v[4:5] offset1:120
	v_lshrrev_b32_e32 v2, 23, v14
	v_mul_lo_u16_e32 v2, 0xf0, v2
	v_sub_u16_e32 v2, v66, v2
	v_lshrrev_b32_e32 v39, 23, v19
	v_lshlrev_b32_e32 v31, 3, v2
	v_mul_lo_u16_e32 v2, 0xf0, v39
	v_sub_u16_e32 v2, v103, v2
	v_lshlrev_b32_e32 v41, 3, v2
	v_lshrrev_b32_e32 v2, 23, v18
	v_mul_lo_u16_e32 v2, 0xf0, v2
	v_sub_u16_e32 v2, v102, v2
	v_lshrrev_b32_e32 v166, 23, v12
	v_lshlrev_b32_e32 v47, 3, v2
	v_mul_lo_u16_e32 v2, 0xf0, v166
	v_sub_u16_e32 v2, v101, v2
	v_lshlrev_b32_e32 v167, 3, v2
	;; [unrolled: 8-line block ×3, first 2 shown]
	v_lshrrev_b32_e32 v2, 23, v15
	s_waitcnt lgkmcnt(0)
	s_barrier
	global_load_dwordx2 v[36:37], v31, s[8:9] offset:1840
	global_load_dwordx2 v[42:43], v41, s[8:9] offset:1840
	;; [unrolled: 1-line block ×3, first 2 shown]
	v_mul_lo_u16_e32 v2, 0xf0, v2
	v_sub_u16_e32 v2, v98, v2
	v_lshrrev_b32_e32 v172, 23, v13
	v_lshlrev_b32_e32 v171, 3, v2
	v_mul_lo_u16_e32 v2, 0xf0, v172
	v_sub_u16_e32 v2, v95, v2
	global_load_dwordx2 v[48:49], v167, s[8:9] offset:1840
	global_load_dwordx2 v[50:51], v168, s[8:9] offset:1840
	;; [unrolled: 1-line block ×4, first 2 shown]
	v_lshlrev_b32_e32 v173, 3, v2
	v_lshrrev_b32_e32 v2, 23, v10
	v_mul_lo_u16_e32 v2, 0xf0, v2
	v_sub_u16_e32 v2, v94, v2
	v_lshrrev_b32_e32 v174, 23, v9
	v_lshlrev_b32_e32 v94, 3, v2
	v_mul_lo_u16_e32 v2, 0xf0, v174
	v_sub_u16_e32 v2, v68, v2
	global_load_dwordx2 v[10:11], v173, s[8:9] offset:1840
	global_load_dwordx2 v[58:59], v94, s[8:9] offset:1840
	v_lshlrev_b32_e32 v175, 3, v2
	v_lshrrev_b32_e32 v2, 23, v7
	v_mul_lo_u16_e32 v2, 0xf0, v2
	v_sub_u16_e32 v2, v96, v2
	v_lshrrev_b32_e32 v176, 23, v6
	v_lshlrev_b32_e32 v96, 3, v2
	v_mul_lo_u16_e32 v2, 0xf0, v176
	v_sub_u16_e32 v2, v97, v2
	global_load_dwordx2 v[60:61], v175, s[8:9] offset:1840
	global_load_dwordx2 v[106:107], v96, s[8:9] offset:1840
	v_lshlrev_b32_e32 v177, 3, v2
	global_load_dwordx2 v[108:109], v177, s[8:9] offset:1840
	s_movk_i32 s0, 0xf0
	v_lshl_add_u64 v[4:5], v[0:1], 3, s[8:9]
	global_load_dwordx2 v[110:111], v[4:5], off offset:1968
	v_add_u32_e32 v2, 0xffffff90, v0
	v_cmp_gt_u32_e64 s[0:1], s0, v92
	s_movk_i32 s10, 0x1000
	s_nop 0
	v_cndmask_b32_e64 v2, v2, v92, s[0:1]
	v_lshl_add_u64 v[6:7], v[2:3], 3, s[8:9]
	global_load_dwordx2 v[112:113], v[6:7], off offset:1840
	global_load_dwordx2 v[114:115], v[4:5], off offset:1840
	ds_read2st64_b64 v[6:9], v104 offset0:56 offset1:58
	ds_read2st64_b64 v[32:35], v104 offset0:52 offset1:54
	s_movk_i32 s0, 0xef
	v_cmp_lt_u32_e64 s[0:1], s0, v92
	v_lshlrev_b32_e32 v2, 3, v2
	s_waitcnt vmcnt(14) lgkmcnt(1)
	v_pk_mul_f32 v[116:117], v[8:9], v[36:37] op_sel:[0,1]
	s_nop 0
	v_pk_fma_f32 v[118:119], v[8:9], v[36:37], v[116:117] op_sel:[0,0,1] op_sel_hi:[1,1,0] neg_lo:[0,0,1] neg_hi:[0,0,1]
	v_pk_fma_f32 v[36:37], v[8:9], v[36:37], v[116:117] op_sel:[0,0,1] op_sel_hi:[1,0,0]
	s_waitcnt vmcnt(13)
	v_pk_mul_f32 v[8:9], v[6:7], v[42:43] op_sel:[0,1]
	s_waitcnt vmcnt(12) lgkmcnt(0)
	v_pk_mul_f32 v[120:121], v[34:35], v[44:45] op_sel:[0,1]
	v_pk_fma_f32 v[116:117], v[6:7], v[42:43], v[8:9] op_sel:[0,0,1] op_sel_hi:[1,1,0] neg_lo:[0,0,1] neg_hi:[0,0,1]
	v_pk_fma_f32 v[42:43], v[6:7], v[42:43], v[8:9] op_sel:[0,0,1] op_sel_hi:[1,0,0]
	ds_read2st64_b64 v[6:9], v104 offset0:48 offset1:50
	v_pk_fma_f32 v[122:123], v[34:35], v[44:45], v[120:121] op_sel:[0,0,1] op_sel_hi:[1,1,0] neg_lo:[0,0,1] neg_hi:[0,0,1]
	v_pk_fma_f32 v[44:45], v[34:35], v[44:45], v[120:121] op_sel:[0,0,1] op_sel_hi:[1,0,0]
	s_waitcnt vmcnt(11)
	v_pk_mul_f32 v[34:35], v[32:33], v[48:49] op_sel:[0,1]
	v_mov_b32_e32 v123, v45
	v_pk_fma_f32 v[120:121], v[32:33], v[48:49], v[34:35] op_sel:[0,0,1] op_sel_hi:[1,1,0] neg_lo:[0,0,1] neg_hi:[0,0,1]
	v_pk_fma_f32 v[48:49], v[32:33], v[48:49], v[34:35] op_sel:[0,0,1] op_sel_hi:[1,0,0]
	ds_read2st64_b64 v[32:35], v104 offset0:44 offset1:46
	s_waitcnt vmcnt(10) lgkmcnt(1)
	v_pk_mul_f32 v[124:125], v[8:9], v[50:51] op_sel:[0,1]
	v_mov_b32_e32 v121, v49
	v_pk_fma_f32 v[126:127], v[8:9], v[50:51], v[124:125] op_sel:[0,0,1] op_sel_hi:[1,1,0] neg_lo:[0,0,1] neg_hi:[0,0,1]
	v_pk_fma_f32 v[50:51], v[8:9], v[50:51], v[124:125] op_sel:[0,0,1] op_sel_hi:[1,0,0]
	s_waitcnt vmcnt(9)
	v_pk_mul_f32 v[8:9], v[6:7], v[54:55] op_sel:[0,1]
	s_waitcnt vmcnt(8) lgkmcnt(0)
	v_pk_mul_f32 v[128:129], v[34:35], v[56:57] op_sel:[0,1]
	v_pk_fma_f32 v[124:125], v[6:7], v[54:55], v[8:9] op_sel:[0,0,1] op_sel_hi:[1,1,0] neg_lo:[0,0,1] neg_hi:[0,0,1]
	v_pk_fma_f32 v[54:55], v[6:7], v[54:55], v[8:9] op_sel:[0,0,1] op_sel_hi:[1,0,0]
	ds_read2st64_b64 v[6:9], v104 offset0:40 offset1:42
	v_pk_fma_f32 v[130:131], v[34:35], v[56:57], v[128:129] op_sel:[0,0,1] op_sel_hi:[1,1,0] neg_lo:[0,0,1] neg_hi:[0,0,1]
	v_pk_fma_f32 v[56:57], v[34:35], v[56:57], v[128:129] op_sel:[0,0,1] op_sel_hi:[1,0,0]
	s_waitcnt vmcnt(7)
	v_pk_mul_f32 v[34:35], v[32:33], v[10:11] op_sel:[0,1]
	v_mov_b32_e32 v131, v57
	v_pk_fma_f32 v[128:129], v[32:33], v[10:11], v[34:35] op_sel:[0,0,1] op_sel_hi:[1,1,0] neg_lo:[0,0,1] neg_hi:[0,0,1]
	v_pk_fma_f32 v[10:11], v[32:33], v[10:11], v[34:35] op_sel:[0,0,1] op_sel_hi:[1,0,0]
	ds_read2st64_b64 v[32:35], v104 offset0:36 offset1:38
	s_waitcnt vmcnt(6) lgkmcnt(1)
	v_pk_mul_f32 v[132:133], v[8:9], v[58:59] op_sel:[0,1]
	v_mov_b32_e32 v129, v11
	v_pk_fma_f32 v[134:135], v[8:9], v[58:59], v[132:133] op_sel:[0,0,1] op_sel_hi:[1,1,0] neg_lo:[0,0,1] neg_hi:[0,0,1]
	v_pk_fma_f32 v[58:59], v[8:9], v[58:59], v[132:133] op_sel:[0,0,1] op_sel_hi:[1,0,0]
	s_waitcnt vmcnt(5)
	v_pk_mul_f32 v[8:9], v[6:7], v[60:61] op_sel:[0,1]
	s_waitcnt vmcnt(4) lgkmcnt(0)
	v_pk_mul_f32 v[136:137], v[34:35], v[106:107] op_sel:[0,1]
	v_pk_fma_f32 v[132:133], v[6:7], v[60:61], v[8:9] op_sel:[0,0,1] op_sel_hi:[1,1,0] neg_lo:[0,0,1] neg_hi:[0,0,1]
	v_pk_fma_f32 v[60:61], v[6:7], v[60:61], v[8:9] op_sel:[0,0,1] op_sel_hi:[1,0,0]
	ds_read2st64_b64 v[6:9], v104 offset0:32 offset1:34
	v_pk_fma_f32 v[138:139], v[34:35], v[106:107], v[136:137] op_sel:[0,0,1] op_sel_hi:[1,1,0] neg_lo:[0,0,1] neg_hi:[0,0,1]
	v_pk_fma_f32 v[106:107], v[34:35], v[106:107], v[136:137] op_sel:[0,0,1] op_sel_hi:[1,0,0]
	s_waitcnt vmcnt(3)
	v_pk_mul_f32 v[34:35], v[32:33], v[108:109] op_sel:[0,1]
	v_mov_b32_e32 v139, v107
	v_pk_fma_f32 v[136:137], v[32:33], v[108:109], v[34:35] op_sel:[0,0,1] op_sel_hi:[1,1,0] neg_lo:[0,0,1] neg_hi:[0,0,1]
	v_pk_fma_f32 v[108:109], v[32:33], v[108:109], v[34:35] op_sel:[0,0,1] op_sel_hi:[1,0,0]
	ds_read2st64_b64 v[32:35], v104 offset1:30
	s_waitcnt vmcnt(2) lgkmcnt(1)
	v_pk_mul_f32 v[140:141], v[110:111], v[8:9] op_sel:[0,1]
	v_mov_b32_e32 v137, v109
	v_pk_fma_f32 v[142:143], v[110:111], v[8:9], v[140:141] op_sel:[0,0,1] op_sel_hi:[1,1,0] neg_lo:[0,0,1] neg_hi:[0,0,1]
	v_pk_fma_f32 v[8:9], v[110:111], v[8:9], v[140:141] op_sel:[0,0,1] op_sel_hi:[1,0,0]
	s_waitcnt vmcnt(1)
	v_pk_mul_f32 v[110:111], v[112:113], v[6:7] op_sel:[0,1]
	v_mov_b32_e32 v143, v9
	v_pk_fma_f32 v[140:141], v[112:113], v[6:7], v[110:111] op_sel:[0,0,1] op_sel_hi:[1,1,0] neg_lo:[0,0,1] neg_hi:[0,0,1]
	v_pk_fma_f32 v[6:7], v[112:113], v[6:7], v[110:111] op_sel:[0,0,1] op_sel_hi:[1,0,0]
	s_waitcnt vmcnt(0) lgkmcnt(0)
	v_pk_mul_f32 v[110:111], v[114:115], v[34:35] op_sel:[0,1]
	v_mov_b32_e32 v6, 0xf00
	v_pk_fma_f32 v[112:113], v[114:115], v[34:35], v[110:111] op_sel:[0,0,1] op_sel_hi:[1,1,0] neg_lo:[0,0,1] neg_hi:[0,0,1]
	v_pk_fma_f32 v[34:35], v[114:115], v[34:35], v[110:111] op_sel:[0,0,1] op_sel_hi:[1,0,0]
	v_mov_b32_e32 v141, v7
	v_mov_b32_e32 v113, v35
	v_pk_add_f32 v[34:35], v[32:33], v[112:113] neg_lo:[0,1] neg_hi:[0,1]
	ds_read_b64 v[110:111], v20
	ds_read_b64 v[112:113], v21
	;; [unrolled: 1-line block ×14, first 2 shown]
	v_cndmask_b32_e64 v6, 0, v6, s[0:1]
	v_pk_fma_f32 v[32:33], v[32:33], 2.0, v[34:35] op_sel_hi:[1,0,1] neg_lo:[0,0,1] neg_hi:[0,0,1]
	v_add3_u32 v2, 0, v6, v2
	s_waitcnt lgkmcnt(0)
	v_pk_add_f32 v[6:7], v[164:165], v[140:141] neg_lo:[0,1] neg_hi:[0,1]
	s_barrier
	ds_write2_b64 v104, v[32:33], v[34:35] offset1:240
	v_pk_fma_f32 v[32:33], v[164:165], 2.0, v[6:7] op_sel_hi:[1,0,1] neg_lo:[0,0,1] neg_hi:[0,0,1]
	ds_write2_b64 v2, v[32:33], v[6:7] offset1:240
	v_pk_add_f32 v[6:7], v[162:163], v[142:143] neg_lo:[0,1] neg_hi:[0,1]
	v_add_u32_e32 v2, 0xf80, v104
	v_pk_fma_f32 v[8:9], v[162:163], 2.0, v[6:7] op_sel_hi:[1,0,1] neg_lo:[0,0,1] neg_hi:[0,0,1]
	ds_write2_b64 v2, v[8:9], v[6:7] offset1:240
	v_mul_u32_u24_e32 v2, 0xf00, v176
	v_pk_add_f32 v[6:7], v[156:157], v[136:137] neg_lo:[0,1] neg_hi:[0,1]
	v_add3_u32 v2, 0, v2, v177
	v_pk_fma_f32 v[8:9], v[156:157], 2.0, v[6:7] op_sel_hi:[1,0,1] neg_lo:[0,0,1] neg_hi:[0,0,1]
	ds_write2_b64 v2, v[8:9], v[6:7] offset1:240
	v_add_u32_e32 v2, 0, v96
	v_pk_add_f32 v[6:7], v[154:155], v[138:139] neg_lo:[0,1] neg_hi:[0,1]
	v_add_u32_e32 v2, 0x1e00, v2
	v_pk_fma_f32 v[8:9], v[154:155], 2.0, v[6:7] op_sel_hi:[1,0,1] neg_lo:[0,0,1] neg_hi:[0,0,1]
	v_mov_b32_e32 v133, v61
	ds_write2_b64 v2, v[8:9], v[6:7] offset1:240
	v_mul_u32_u24_e32 v2, 0xf00, v174
	v_pk_add_f32 v[6:7], v[160:161], v[132:133] neg_lo:[0,1] neg_hi:[0,1]
	v_add3_u32 v2, 0, v2, v175
	v_pk_fma_f32 v[8:9], v[160:161], 2.0, v[6:7] op_sel_hi:[1,0,1] neg_lo:[0,0,1] neg_hi:[0,0,1]
	v_mov_b32_e32 v135, v59
	ds_write2_b64 v2, v[8:9], v[6:7] offset1:240
	v_add_u32_e32 v2, 0, v94
	v_pk_add_f32 v[6:7], v[152:153], v[134:135] neg_lo:[0,1] neg_hi:[0,1]
	v_add_u32_e32 v2, 0x2d00, v2
	v_pk_fma_f32 v[8:9], v[152:153], 2.0, v[6:7] op_sel_hi:[1,0,1] neg_lo:[0,0,1] neg_hi:[0,0,1]
	ds_write2_b64 v2, v[8:9], v[6:7] offset1:240
	v_mul_u32_u24_e32 v2, 0xf00, v172
	v_pk_add_f32 v[6:7], v[150:151], v[128:129] neg_lo:[0,1] neg_hi:[0,1]
	v_add3_u32 v2, 0, v2, v173
	v_pk_fma_f32 v[8:9], v[150:151], 2.0, v[6:7] op_sel_hi:[1,0,1] neg_lo:[0,0,1] neg_hi:[0,0,1]
	ds_write2_b64 v2, v[8:9], v[6:7] offset1:240
	v_add_u32_e32 v2, 0, v171
	v_pk_add_f32 v[6:7], v[148:149], v[130:131] neg_lo:[0,1] neg_hi:[0,1]
	v_add_u32_e32 v2, 0x3c00, v2
	v_pk_fma_f32 v[8:9], v[148:149], 2.0, v[6:7] op_sel_hi:[1,0,1] neg_lo:[0,0,1] neg_hi:[0,0,1]
	v_mov_b32_e32 v125, v55
	ds_write2_b64 v2, v[8:9], v[6:7] offset1:240
	v_mul_u32_u24_e32 v2, 0xf00, v169
	v_pk_add_f32 v[6:7], v[146:147], v[124:125] neg_lo:[0,1] neg_hi:[0,1]
	v_add3_u32 v2, 0, v2, v170
	v_pk_fma_f32 v[8:9], v[146:147], 2.0, v[6:7] op_sel_hi:[1,0,1] neg_lo:[0,0,1] neg_hi:[0,0,1]
	v_mov_b32_e32 v127, v51
	ds_write2_b64 v2, v[8:9], v[6:7] offset1:240
	v_add_u32_e32 v2, 0, v168
	;; [unrolled: 22-line block ×3, first 2 shown]
	v_pk_add_f32 v[6:7], v[110:111], v[118:119] neg_lo:[0,1] neg_hi:[0,1]
	v_add_u32_e32 v2, 0x6900, v2
	v_pk_fma_f32 v[8:9], v[110:111], 2.0, v[6:7] op_sel_hi:[1,0,1] neg_lo:[0,0,1] neg_hi:[0,0,1]
	ds_write2_b64 v2, v[8:9], v[6:7] offset1:240
	v_lshl_add_u64 v[6:7], v[88:89], 3, s[8:9]
	s_waitcnt lgkmcnt(0)
	s_barrier
	v_lshl_add_u64 v[8:9], v[92:93], 3, s[8:9]
	global_load_dwordx2 v[36:37], v[6:7], off offset:3760
	global_load_dwordx2 v[42:43], v[8:9], off offset:3760
	v_mul_lo_u16_sdwa v2, v14, s4 dst_sel:DWORD dst_unused:UNUSED_PAD src0_sel:BYTE_3 src1_sel:DWORD
	v_sub_u16_e32 v2, v66, v2
	v_add_co_u32_e64 v10, s[0:1], s10, v4
	v_lshlrev_b32_e32 v31, 3, v2
	v_mul_lo_u16_sdwa v2, v19, s4 dst_sel:DWORD dst_unused:UNUSED_PAD src0_sel:BYTE_3 src1_sel:DWORD
	v_addc_co_u32_e64 v11, s[0:1], 0, v5, s[0:1]
	v_sub_u16_e32 v2, v103, v2
	global_load_dwordx2 v[44:45], v[10:11], off offset:944
	global_load_dwordx2 v[48:49], v[10:11], off offset:1968
	v_lshlrev_b32_e32 v39, 3, v2
	v_mul_lo_u16_sdwa v2, v18, s4 dst_sel:DWORD dst_unused:UNUSED_PAD src0_sel:BYTE_3 src1_sel:DWORD
	global_load_dwordx2 v[50:51], v31, s[8:9] offset:3760
	v_sub_u16_e32 v2, v102, v2
	v_lshlrev_b32_e32 v41, 3, v2
	v_mul_lo_u16_sdwa v2, v12, s4 dst_sel:DWORD dst_unused:UNUSED_PAD src0_sel:BYTE_3 src1_sel:DWORD
	global_load_dwordx2 v[18:19], v39, s[8:9] offset:3760
	global_load_dwordx2 v[54:55], v41, s[8:9] offset:3760
	v_sub_u16_e32 v2, v101, v2
	v_lshlrev_b32_e32 v47, 3, v2
	v_mul_lo_u16_sdwa v2, v17, s4 dst_sel:DWORD dst_unused:UNUSED_PAD src0_sel:BYTE_3 src1_sel:DWORD
	v_sub_u16_e32 v2, v100, v2
	v_lshlrev_b32_e32 v94, 3, v2
	v_mul_lo_u16_sdwa v2, v16, s4 dst_sel:DWORD dst_unused:UNUSED_PAD src0_sel:BYTE_3 src1_sel:DWORD
	global_load_dwordx2 v[56:57], v47, s[8:9] offset:3760
	global_load_dwordx2 v[58:59], v94, s[8:9] offset:3760
	v_sub_u16_e32 v2, v99, v2
	v_lshlrev_b32_e32 v96, 3, v2
	global_load_dwordx2 v[60:61], v96, s[8:9] offset:3760
	v_mul_lo_u16_sdwa v2, v15, s4 dst_sel:DWORD dst_unused:UNUSED_PAD src0_sel:BYTE_3 src1_sel:DWORD
	v_sub_u16_e32 v2, v98, v2
	v_lshlrev_b32_e32 v154, 3, v2
	global_load_dwordx2 v[98:99], v154, s[8:9] offset:3760
	v_mul_lo_u16_sdwa v2, v13, s4 dst_sel:DWORD dst_unused:UNUSED_PAD src0_sel:BYTE_3 src1_sel:DWORD
	v_sub_u16_e32 v2, v95, v2
	v_lshlrev_b32_e32 v155, 3, v2
	global_load_dwordx2 v[100:101], v155, s[8:9] offset:3760
	global_load_dwordx2 v[102:103], v[4:5], off offset:4016
	v_add_u32_e32 v2, 0xffffffa0, v0
	v_cmp_gt_u32_e64 s[0:1], s4, v97
	s_movk_i32 s4, 0x2000
	s_nop 0
	v_cndmask_b32_e64 v2, v2, v97, s[0:1]
	v_lshl_add_u64 v[14:15], v[2:3], 3, s[8:9]
	global_load_dwordx2 v[106:107], v[14:15], off offset:3760
	global_load_dwordx2 v[108:109], v[4:5], off offset:3760
	ds_read2st64_b64 v[14:17], v104 offset0:32 offset1:34
	ds_read2st64_b64 v[32:35], v104 offset0:40 offset1:42
	s_movk_i32 s0, 0x1df
	v_cmp_lt_u32_e64 s[0:1], s0, v97
	v_lshlrev_b32_e32 v2, 3, v2
	s_waitcnt vmcnt(14) lgkmcnt(1)
	v_pk_mul_f32 v[110:111], v[36:37], v[16:17] op_sel:[0,1]
	s_nop 0
	v_pk_fma_f32 v[112:113], v[36:37], v[16:17], v[110:111] op_sel:[0,0,1] op_sel_hi:[1,1,0] neg_lo:[0,0,1] neg_hi:[0,0,1]
	v_pk_fma_f32 v[36:37], v[36:37], v[16:17], v[110:111] op_sel:[0,0,1] op_sel_hi:[1,0,0]
	s_waitcnt vmcnt(13)
	v_pk_mul_f32 v[16:17], v[42:43], v[14:15] op_sel:[0,1]
	v_mov_b32_e32 v113, v37
	v_pk_fma_f32 v[110:111], v[42:43], v[14:15], v[16:17] op_sel:[0,0,1] op_sel_hi:[1,1,0] neg_lo:[0,0,1] neg_hi:[0,0,1]
	v_pk_fma_f32 v[42:43], v[42:43], v[14:15], v[16:17] op_sel:[0,0,1] op_sel_hi:[1,0,0]
	ds_read2st64_b64 v[14:17], v104 offset0:56 offset1:58
	v_mov_b32_e32 v111, v43
	s_waitcnt vmcnt(12) lgkmcnt(1)
	v_pk_mul_f32 v[114:115], v[32:33], v[44:45] op_sel:[0,1]
	s_nop 0
	v_pk_fma_f32 v[116:117], v[32:33], v[44:45], v[114:115] op_sel:[0,0,1] op_sel_hi:[1,1,0] neg_lo:[0,0,1] neg_hi:[0,0,1]
	v_pk_fma_f32 v[44:45], v[32:33], v[44:45], v[114:115] op_sel:[0,0,1] op_sel_hi:[1,0,0]
	s_waitcnt vmcnt(11)
	v_pk_mul_f32 v[32:33], v[34:35], v[48:49] op_sel:[0,1]
	s_waitcnt vmcnt(10) lgkmcnt(0)
	v_pk_mul_f32 v[118:119], v[16:17], v[50:51] op_sel:[0,1]
	v_pk_fma_f32 v[114:115], v[34:35], v[48:49], v[32:33] op_sel:[0,0,1] op_sel_hi:[1,1,0] neg_lo:[0,0,1] neg_hi:[0,0,1]
	v_pk_fma_f32 v[48:49], v[34:35], v[48:49], v[32:33] op_sel:[0,0,1] op_sel_hi:[1,0,0]
	ds_read2st64_b64 v[32:35], v104 offset0:52 offset1:54
	v_pk_fma_f32 v[120:121], v[16:17], v[50:51], v[118:119] op_sel:[0,0,1] op_sel_hi:[1,1,0] neg_lo:[0,0,1] neg_hi:[0,0,1]
	v_pk_fma_f32 v[50:51], v[16:17], v[50:51], v[118:119] op_sel:[0,0,1] op_sel_hi:[1,0,0]
	s_waitcnt vmcnt(9)
	v_pk_mul_f32 v[16:17], v[14:15], v[18:19] op_sel:[0,1]
	v_mov_b32_e32 v117, v45
	v_pk_fma_f32 v[118:119], v[14:15], v[18:19], v[16:17] op_sel:[0,0,1] op_sel_hi:[1,1,0] neg_lo:[0,0,1] neg_hi:[0,0,1]
	v_pk_fma_f32 v[122:123], v[14:15], v[18:19], v[16:17] op_sel:[0,0,1] op_sel_hi:[1,0,0]
	ds_read2st64_b64 v[14:17], v104 offset0:48 offset1:50
	s_waitcnt vmcnt(8) lgkmcnt(1)
	v_pk_mul_f32 v[18:19], v[34:35], v[54:55] op_sel:[0,1]
	v_mov_b32_e32 v115, v49
	v_pk_fma_f32 v[124:125], v[34:35], v[54:55], v[18:19] op_sel:[0,0,1] op_sel_hi:[1,1,0] neg_lo:[0,0,1] neg_hi:[0,0,1]
	v_pk_fma_f32 v[54:55], v[34:35], v[54:55], v[18:19] op_sel:[0,0,1] op_sel_hi:[1,0,0]
	s_waitcnt vmcnt(7)
	v_pk_mul_f32 v[18:19], v[32:33], v[56:57] op_sel:[0,1]
	v_mov_b32_e32 v125, v55
	v_pk_fma_f32 v[126:127], v[32:33], v[56:57], v[18:19] op_sel:[0,0,1] op_sel_hi:[1,1,0] neg_lo:[0,0,1] neg_hi:[0,0,1]
	v_pk_fma_f32 v[56:57], v[32:33], v[56:57], v[18:19] op_sel:[0,0,1] op_sel_hi:[1,0,0]
	s_waitcnt vmcnt(6) lgkmcnt(0)
	v_pk_mul_f32 v[18:19], v[16:17], v[58:59] op_sel:[0,1]
	ds_read2st64_b64 v[32:35], v104 offset0:44 offset1:46
	v_pk_fma_f32 v[128:129], v[16:17], v[58:59], v[18:19] op_sel:[0,0,1] op_sel_hi:[1,1,0] neg_lo:[0,0,1] neg_hi:[0,0,1]
	v_pk_fma_f32 v[58:59], v[16:17], v[58:59], v[18:19] op_sel:[0,0,1] op_sel_hi:[1,0,0]
	s_waitcnt vmcnt(5)
	v_pk_mul_f32 v[16:17], v[14:15], v[60:61] op_sel:[0,1]
	v_mov_b32_e32 v129, v59
	v_pk_fma_f32 v[130:131], v[14:15], v[60:61], v[16:17] op_sel:[0,0,1] op_sel_hi:[1,1,0] neg_lo:[0,0,1] neg_hi:[0,0,1]
	v_pk_fma_f32 v[60:61], v[14:15], v[60:61], v[16:17] op_sel:[0,0,1] op_sel_hi:[1,0,0]
	ds_read2st64_b64 v[14:17], v104 offset0:36 offset1:38
	s_waitcnt vmcnt(4) lgkmcnt(1)
	v_pk_mul_f32 v[18:19], v[34:35], v[98:99] op_sel:[0,1]
	v_mov_b32_e32 v131, v61
	v_pk_fma_f32 v[132:133], v[34:35], v[98:99], v[18:19] op_sel:[0,0,1] op_sel_hi:[1,1,0] neg_lo:[0,0,1] neg_hi:[0,0,1]
	v_pk_fma_f32 v[34:35], v[34:35], v[98:99], v[18:19] op_sel:[0,0,1] op_sel_hi:[1,0,0]
	s_waitcnt vmcnt(3)
	v_pk_mul_f32 v[18:19], v[32:33], v[100:101] op_sel:[0,1]
	s_waitcnt vmcnt(1) lgkmcnt(0)
	v_pk_mul_f32 v[134:135], v[14:15], v[106:107] op_sel:[0,1]
	v_pk_fma_f32 v[98:99], v[32:33], v[100:101], v[18:19] op_sel:[0,0,1] op_sel_hi:[1,1,0] neg_lo:[0,0,1] neg_hi:[0,0,1]
	v_pk_fma_f32 v[32:33], v[32:33], v[100:101], v[18:19] op_sel:[0,0,1] op_sel_hi:[1,0,0]
	v_pk_mul_f32 v[18:19], v[16:17], v[102:103] op_sel:[0,1]
	v_pk_fma_f32 v[136:137], v[14:15], v[106:107], v[134:135] op_sel:[0,0,1] op_sel_hi:[1,1,0] neg_lo:[0,0,1] neg_hi:[0,0,1]
	v_pk_fma_f32 v[100:101], v[16:17], v[102:103], v[18:19] op_sel:[0,0,1] op_sel_hi:[1,1,0] neg_lo:[0,0,1] neg_hi:[0,0,1]
	v_pk_fma_f32 v[102:103], v[16:17], v[102:103], v[18:19] op_sel:[0,0,1] op_sel_hi:[1,0,0]
	ds_read2st64_b64 v[16:19], v104 offset1:30
	v_pk_fma_f32 v[14:15], v[14:15], v[106:107], v[134:135] op_sel:[0,0,1] op_sel_hi:[1,0,0]
	v_mov_b32_e32 v101, v103
	v_mov_b32_e32 v137, v15
	;; [unrolled: 1-line block ×3, first 2 shown]
	s_waitcnt vmcnt(0) lgkmcnt(0)
	v_pk_mul_f32 v[36:37], v[108:109], v[18:19] op_sel:[0,1]
	v_mov_b32_e32 v133, v35
	v_pk_fma_f32 v[42:43], v[108:109], v[18:19], v[36:37] op_sel:[0,0,1] op_sel_hi:[1,1,0] neg_lo:[0,0,1] neg_hi:[0,0,1]
	v_pk_fma_f32 v[18:19], v[108:109], v[18:19], v[36:37] op_sel:[0,0,1] op_sel_hi:[1,0,0]
	v_mov_b32_e32 v127, v57
	v_mov_b32_e32 v43, v19
	v_pk_add_f32 v[18:19], v[16:17], v[42:43] neg_lo:[0,1] neg_hi:[0,1]
	ds_read_b64 v[14:15], v24
	ds_read_b64 v[36:37], v40
	;; [unrolled: 1-line block ×14, first 2 shown]
	v_pk_fma_f32 v[16:17], v[16:17], 2.0, v[18:19] op_sel_hi:[1,0,1] neg_lo:[0,0,1] neg_hi:[0,0,1]
	s_waitcnt lgkmcnt(0)
	s_barrier
	ds_write_b64 v104, v[16:17]
	ds_write_b64 v104, v[18:19] offset:3840
	v_pk_add_f32 v[16:17], v[36:37], v[110:111] neg_lo:[0,1] neg_hi:[0,1]
	v_mov_b32_e32 v119, v123
	v_pk_fma_f32 v[18:19], v[36:37], 2.0, v[16:17] op_sel_hi:[1,0,1] neg_lo:[0,0,1] neg_hi:[0,0,1]
	ds_write_b64 v40, v[18:19]
	ds_write_b64 v40, v[16:17] offset:3840
	v_pk_add_f32 v[16:17], v[14:15], v[112:113] neg_lo:[0,1] neg_hi:[0,1]
	v_pk_add_f32 v[18:19], v[140:141], v[116:117] neg_lo:[0,1] neg_hi:[0,1]
	v_pk_fma_f32 v[14:15], v[14:15], 2.0, v[16:17] op_sel_hi:[1,0,1] neg_lo:[0,0,1] neg_hi:[0,0,1]
	ds_write_b64 v24, v[14:15]
	ds_write_b64 v24, v[16:17] offset:3840
	v_mov_b32_e32 v14, 0x1e00
	v_cndmask_b32_e64 v14, 0, v14, s[0:1]
	v_add3_u32 v2, 0, v14, v2
	v_pk_add_f32 v[14:15], v[152:153], v[136:137] neg_lo:[0,1] neg_hi:[0,1]
	v_pk_fma_f32 v[36:37], v[140:141], 2.0, v[18:19] op_sel_hi:[1,0,1] neg_lo:[0,0,1] neg_hi:[0,0,1]
	v_pk_fma_f32 v[16:17], v[152:153], 2.0, v[14:15] op_sel_hi:[1,0,1] neg_lo:[0,0,1] neg_hi:[0,0,1]
	ds_write_b64 v2, v[16:17]
	ds_write_b64 v2, v[14:15] offset:3840
	v_pk_add_f32 v[14:15], v[150:151], v[100:101] neg_lo:[0,1] neg_hi:[0,1]
	v_add_u32_e32 v2, 0x100, v104
	v_pk_fma_f32 v[16:17], v[150:151], 2.0, v[14:15] op_sel_hi:[1,0,1] neg_lo:[0,0,1] neg_hi:[0,0,1]
	ds_write2st64_b64 v2, v[16:17], v[36:37] offset0:15 offset1:17
	v_pk_add_f32 v[16:17], v[42:43], v[114:115] neg_lo:[0,1] neg_hi:[0,1]
	v_add_u32_e32 v2, 0x2700, v104
	v_pk_fma_f32 v[36:37], v[42:43], 2.0, v[16:17] op_sel_hi:[1,0,1] neg_lo:[0,0,1] neg_hi:[0,0,1]
	s_movk_i32 s0, 0x1e00
	ds_write2_b64 v2, v[36:37], v[14:15] offset1:224
	ds_write2st64_b64 v104, v[18:19], v[16:17] offset0:25 offset1:27
	v_mul_u32_u24_sdwa v2, v13, s0 dst_sel:DWORD dst_unused:UNUSED_PAD src0_sel:BYTE_3 src1_sel:DWORD
	v_pk_add_f32 v[14:15], v[148:149], v[98:99] neg_lo:[0,1] neg_hi:[0,1]
	v_add3_u32 v2, 0, v2, v155
	v_pk_fma_f32 v[16:17], v[148:149], 2.0, v[14:15] op_sel_hi:[1,0,1] neg_lo:[0,0,1] neg_hi:[0,0,1]
	ds_write_b64 v2, v[16:17]
	ds_write_b64 v2, v[14:15] offset:3840
	v_pk_add_f32 v[14:15], v[146:147], v[132:133] neg_lo:[0,1] neg_hi:[0,1]
	v_add_u32_e32 v2, 0, v154
	v_pk_fma_f32 v[16:17], v[146:147], 2.0, v[14:15] op_sel_hi:[1,0,1] neg_lo:[0,0,1] neg_hi:[0,0,1]
	ds_write_b64 v2, v[16:17] offset:15360
	ds_write_b64 v2, v[14:15] offset:19200
	v_pk_add_f32 v[14:15], v[144:145], v[130:131] neg_lo:[0,1] neg_hi:[0,1]
	v_add_u32_e32 v2, 0, v96
	v_pk_fma_f32 v[16:17], v[144:145], 2.0, v[14:15] op_sel_hi:[1,0,1] neg_lo:[0,0,1] neg_hi:[0,0,1]
	ds_write_b64 v2, v[16:17] offset:15360
	ds_write_b64 v2, v[14:15] offset:19200
	v_pk_add_f32 v[14:15], v[142:143], v[128:129] neg_lo:[0,1] neg_hi:[0,1]
	v_add_u32_e32 v2, 0, v94
	v_pk_fma_f32 v[16:17], v[142:143], 2.0, v[14:15] op_sel_hi:[1,0,1] neg_lo:[0,0,1] neg_hi:[0,0,1]
	ds_write_b64 v2, v[16:17] offset:15360
	ds_write_b64 v2, v[14:15] offset:19200
	v_mul_u32_u24_sdwa v2, v12, s0 dst_sel:DWORD dst_unused:UNUSED_PAD src0_sel:BYTE_3 src1_sel:DWORD
	v_pk_add_f32 v[12:13], v[138:139], v[126:127] neg_lo:[0,1] neg_hi:[0,1]
	v_add3_u32 v2, 0, v2, v47
	v_pk_fma_f32 v[14:15], v[138:139], 2.0, v[12:13] op_sel_hi:[1,0,1] neg_lo:[0,0,1] neg_hi:[0,0,1]
	ds_write_b64 v2, v[14:15]
	ds_write_b64 v2, v[12:13] offset:3840
	v_pk_add_f32 v[12:13], v[134:135], v[124:125] neg_lo:[0,1] neg_hi:[0,1]
	v_add_u32_e32 v2, 0, v41
	v_pk_fma_f32 v[14:15], v[134:135], 2.0, v[12:13] op_sel_hi:[1,0,1] neg_lo:[0,0,1] neg_hi:[0,0,1]
	ds_write_b64 v2, v[14:15] offset:23040
	ds_write_b64 v2, v[12:13] offset:26880
	v_pk_add_f32 v[12:13], v[108:109], v[118:119] neg_lo:[0,1] neg_hi:[0,1]
	v_add_u32_e32 v2, 0, v39
	v_pk_fma_f32 v[14:15], v[108:109], 2.0, v[12:13] op_sel_hi:[1,0,1] neg_lo:[0,0,1] neg_hi:[0,0,1]
	v_mov_b32_e32 v121, v51
	ds_write_b64 v2, v[14:15] offset:23040
	ds_write_b64 v2, v[12:13] offset:26880
	v_pk_add_f32 v[12:13], v[106:107], v[120:121] neg_lo:[0,1] neg_hi:[0,1]
	v_add_u32_e32 v2, 0, v31
	v_pk_fma_f32 v[14:15], v[106:107], 2.0, v[12:13] op_sel_hi:[1,0,1] neg_lo:[0,0,1] neg_hi:[0,0,1]
	ds_write_b64 v2, v[14:15] offset:23040
	ds_write_b64 v2, v[12:13] offset:26880
	v_lshl_add_u64 v[12:13], v[84:85], 3, s[8:9]
	v_add_co_u32_e64 v16, s[0:1], s10, v12
	v_lshl_add_u64 v[14:15], v[68:69], 3, s[8:9]
	s_nop 0
	v_addc_co_u32_e64 v17, s[0:1], 0, v13, s[0:1]
	v_add_co_u32_e64 v18, s[0:1], s10, v14
	v_add_u32_e32 v2, 0xfffffc40, v95
	s_nop 0
	v_addc_co_u32_e64 v19, s[0:1], 0, v15, s[0:1]
	v_add_co_u32_e64 v32, s[0:1], s4, v4
	s_waitcnt lgkmcnt(0)
	s_nop 0
	v_addc_co_u32_e64 v33, s[0:1], 0, v5, s[0:1]
	v_cmp_gt_u32_e64 s[0:1], s5, v95
	s_barrier
	s_nop 0
	v_cndmask_b32_e64 v2, v2, v95, s[0:1]
	v_lshl_add_u64 v[34:35], v[2:3], 3, s[8:9]
	v_add_co_u32_e64 v34, s[0:1], s10, v34
	v_lshlrev_b32_e32 v2, 3, v2
	s_nop 0
	v_addc_co_u32_e64 v35, s[0:1], 0, v35, s[0:1]
	global_load_dwordx2 v[36:37], v[32:33], off offset:944
	global_load_dwordx2 v[48:49], v[34:35], off offset:3504
	;; [unrolled: 1-line block ×4, first 2 shown]
	v_lshl_add_u64 v[16:17], v[86:87], 3, s[8:9]
	v_add_co_u32_e64 v34, s[0:1], s10, v16
	v_lshl_add_u64 v[18:19], v[90:91], 3, s[8:9]
	s_nop 0
	v_addc_co_u32_e64 v35, s[0:1], 0, v17, s[0:1]
	v_add_co_u32_e64 v42, s[0:1], s10, v18
	s_movk_i32 s4, 0x3000
	s_nop 0
	v_addc_co_u32_e64 v43, s[0:1], 0, v19, s[0:1]
	global_load_dwordx2 v[56:57], v[34:35], off offset:3504
	global_load_dwordx2 v[58:59], v[42:43], off offset:3504
	v_add_co_u32_e64 v34, s[0:1], s10, v6
	s_nop 1
	v_addc_co_u32_e64 v35, s[0:1], 0, v7, s[0:1]
	v_add_co_u32_e64 v42, s[0:1], s10, v8
	s_nop 1
	v_addc_co_u32_e64 v43, s[0:1], 0, v9, s[0:1]
	global_load_dwordx2 v[60:61], v[34:35], off offset:3504
	global_load_dwordx2 v[96:97], v[42:43], off offset:3504
	v_add_u32_e32 v34, 0x240, v0
	v_mov_b32_e32 v35, v3
	v_lshl_add_u64 v[34:35], v[34:35], 3, s[8:9]
	global_load_dwordx2 v[98:99], v[32:33], off offset:1968
	global_load_dwordx2 v[100:101], v[32:33], off offset:2992
	v_add_co_u32_e64 v32, s[0:1], s10, v34
	v_add_u32_e32 v34, 0x2c0, v0
	s_nop 0
	v_addc_co_u32_e64 v33, s[0:1], 0, v35, s[0:1]
	v_mov_b32_e32 v35, v3
	v_lshl_add_u64 v[34:35], v[34:35], 3, s[8:9]
	v_add_co_u32_e64 v34, s[0:1], s10, v34
	s_nop 1
	v_addc_co_u32_e64 v35, s[0:1], 0, v35, s[0:1]
	global_load_dwordx2 v[102:103], v[32:33], off offset:3504
	global_load_dwordx2 v[106:107], v[34:35], off offset:3504
	v_add_u32_e32 v32, 0x340, v0
	v_mov_b32_e32 v33, v3
	v_lshl_add_u64 v[32:33], v[32:33], 3, s[8:9]
	v_add_co_u32_e64 v32, s[0:1], s10, v32
	v_mov_b32_e32 v3, 0x3c00
	s_nop 0
	v_addc_co_u32_e64 v33, s[0:1], 0, v33, s[0:1]
	global_load_dwordx2 v[108:109], v[32:33], off offset:3504
	global_load_dwordx2 v[110:111], v[10:11], off offset:4016
	;; [unrolled: 1-line block ×3, first 2 shown]
	ds_read2st64_b64 v[32:35], v104 offset0:40 offset1:42
	ds_read2st64_b64 v[42:45], v104 offset0:36 offset1:38
	s_movk_i32 s0, 0x3bf
	v_cmp_lt_u32_e64 s[0:1], s0, v95
	s_waitcnt vmcnt(12) lgkmcnt(1)
	v_pk_mul_f32 v[10:11], v[34:35], v[50:51] op_sel:[0,1]
	s_nop 0
	v_pk_fma_f32 v[114:115], v[34:35], v[50:51], v[10:11] op_sel:[0,0,1] op_sel_hi:[1,1,0] neg_lo:[0,0,1] neg_hi:[0,0,1]
	v_pk_fma_f32 v[10:11], v[34:35], v[50:51], v[10:11] op_sel:[0,0,1] op_sel_hi:[1,0,0]
	s_waitcnt vmcnt(11)
	v_pk_mul_f32 v[34:35], v[32:33], v[54:55] op_sel:[0,1]
	v_mov_b32_e32 v115, v11
	v_pk_fma_f32 v[50:51], v[32:33], v[54:55], v[34:35] op_sel:[0,0,1] op_sel_hi:[1,1,0] neg_lo:[0,0,1] neg_hi:[0,0,1]
	v_pk_fma_f32 v[54:55], v[32:33], v[54:55], v[34:35] op_sel:[0,0,1] op_sel_hi:[1,0,0]
	ds_read2st64_b64 v[32:35], v104 offset0:32 offset1:34
	v_mov_b32_e32 v51, v55
	v_cndmask_b32_e64 v3, 0, v3, s[0:1]
	v_add3_u32 v31, 0, v3, v2
	s_waitcnt vmcnt(10) lgkmcnt(1)
	v_pk_mul_f32 v[116:117], v[44:45], v[56:57] op_sel:[0,1]
	s_nop 0
	v_pk_fma_f32 v[118:119], v[44:45], v[56:57], v[116:117] op_sel:[0,0,1] op_sel_hi:[1,1,0] neg_lo:[0,0,1] neg_hi:[0,0,1]
	v_pk_fma_f32 v[56:57], v[44:45], v[56:57], v[116:117] op_sel:[0,0,1] op_sel_hi:[1,0,0]
	s_waitcnt vmcnt(9)
	v_pk_mul_f32 v[44:45], v[42:43], v[58:59] op_sel:[0,1]
	v_mov_b32_e32 v119, v57
	v_pk_fma_f32 v[116:117], v[42:43], v[58:59], v[44:45] op_sel:[0,0,1] op_sel_hi:[1,1,0] neg_lo:[0,0,1] neg_hi:[0,0,1]
	v_pk_fma_f32 v[58:59], v[42:43], v[58:59], v[44:45] op_sel:[0,0,1] op_sel_hi:[1,0,0]
	ds_read2st64_b64 v[42:45], v104 offset0:48 offset1:50
	v_mov_b32_e32 v117, v59
	s_waitcnt vmcnt(8) lgkmcnt(1)
	v_pk_mul_f32 v[120:121], v[60:61], v[34:35] op_sel:[0,1]
	s_nop 0
	v_pk_fma_f32 v[122:123], v[60:61], v[34:35], v[120:121] op_sel:[0,0,1] op_sel_hi:[1,1,0] neg_lo:[0,0,1] neg_hi:[0,0,1]
	v_pk_fma_f32 v[60:61], v[60:61], v[34:35], v[120:121] op_sel:[0,0,1] op_sel_hi:[1,0,0]
	s_waitcnt vmcnt(7)
	v_pk_mul_f32 v[34:35], v[96:97], v[32:33] op_sel:[0,1]
	s_waitcnt lgkmcnt(0)
	v_pk_mul_f32 v[124:125], v[42:43], v[36:37] op_sel:[0,1]
	v_pk_fma_f32 v[120:121], v[96:97], v[32:33], v[34:35] op_sel:[0,0,1] op_sel_hi:[1,1,0] neg_lo:[0,0,1] neg_hi:[0,0,1]
	v_pk_fma_f32 v[96:97], v[96:97], v[32:33], v[34:35] op_sel:[0,0,1] op_sel_hi:[1,0,0]
	ds_read2st64_b64 v[32:35], v104 offset0:52 offset1:54
	v_pk_fma_f32 v[126:127], v[42:43], v[36:37], v[124:125] op_sel:[0,0,1] op_sel_hi:[1,1,0] neg_lo:[0,0,1] neg_hi:[0,0,1]
	v_pk_fma_f32 v[36:37], v[42:43], v[36:37], v[124:125] op_sel:[0,0,1] op_sel_hi:[1,0,0]
	s_waitcnt vmcnt(6)
	v_pk_mul_f32 v[42:43], v[44:45], v[98:99] op_sel:[0,1]
	v_mov_b32_e32 v121, v97
	v_pk_fma_f32 v[124:125], v[44:45], v[98:99], v[42:43] op_sel:[0,0,1] op_sel_hi:[1,1,0] neg_lo:[0,0,1] neg_hi:[0,0,1]
	v_pk_fma_f32 v[98:99], v[44:45], v[98:99], v[42:43] op_sel:[0,0,1] op_sel_hi:[1,0,0]
	ds_read2st64_b64 v[42:45], v104 offset0:56 offset1:58
	s_waitcnt vmcnt(5) lgkmcnt(1)
	v_pk_mul_f32 v[128:129], v[32:33], v[100:101] op_sel:[0,1]
	v_mov_b32_e32 v123, v61
	v_pk_fma_f32 v[130:131], v[32:33], v[100:101], v[128:129] op_sel:[0,0,1] op_sel_hi:[1,1,0] neg_lo:[0,0,1] neg_hi:[0,0,1]
	v_pk_fma_f32 v[100:101], v[32:33], v[100:101], v[128:129] op_sel:[0,0,1] op_sel_hi:[1,0,0]
	s_waitcnt vmcnt(4)
	v_pk_mul_f32 v[32:33], v[34:35], v[102:103] op_sel:[0,1]
	s_waitcnt vmcnt(3) lgkmcnt(0)
	v_pk_mul_f32 v[132:133], v[42:43], v[106:107] op_sel:[0,1]
	v_pk_fma_f32 v[128:129], v[34:35], v[102:103], v[32:33] op_sel:[0,0,1] op_sel_hi:[1,1,0] neg_lo:[0,0,1] neg_hi:[0,0,1]
	v_pk_fma_f32 v[102:103], v[34:35], v[102:103], v[32:33] op_sel:[0,0,1] op_sel_hi:[1,0,0]
	ds_read2st64_b64 v[32:35], v104 offset0:44 offset1:46
	v_pk_fma_f32 v[134:135], v[42:43], v[106:107], v[132:133] op_sel:[0,0,1] op_sel_hi:[1,1,0] neg_lo:[0,0,1] neg_hi:[0,0,1]
	v_pk_fma_f32 v[106:107], v[42:43], v[106:107], v[132:133] op_sel:[0,0,1] op_sel_hi:[1,0,0]
	s_waitcnt vmcnt(2)
	v_pk_mul_f32 v[42:43], v[44:45], v[108:109] op_sel:[0,1]
	v_mov_b32_e32 v127, v37
	v_pk_fma_f32 v[132:133], v[44:45], v[108:109], v[42:43] op_sel:[0,0,1] op_sel_hi:[1,1,0] neg_lo:[0,0,1] neg_hi:[0,0,1]
	v_pk_fma_f32 v[108:109], v[44:45], v[108:109], v[42:43] op_sel:[0,0,1] op_sel_hi:[1,0,0]
	ds_read2st64_b64 v[42:45], v104 offset1:30
	s_waitcnt vmcnt(1) lgkmcnt(1)
	v_pk_mul_f32 v[136:137], v[34:35], v[110:111] op_sel:[0,1]
	v_mov_b32_e32 v125, v99
	v_pk_fma_f32 v[138:139], v[34:35], v[110:111], v[136:137] op_sel:[0,0,1] op_sel_hi:[1,1,0] neg_lo:[0,0,1] neg_hi:[0,0,1]
	v_pk_fma_f32 v[34:35], v[34:35], v[110:111], v[136:137] op_sel:[0,0,1] op_sel_hi:[1,0,0]
	v_pk_mul_f32 v[110:111], v[32:33], v[48:49] op_sel:[0,1]
	v_mov_b32_e32 v139, v35
	v_pk_fma_f32 v[136:137], v[32:33], v[48:49], v[110:111] op_sel:[0,0,1] op_sel_hi:[1,1,0] neg_lo:[0,0,1] neg_hi:[0,0,1]
	v_pk_fma_f32 v[32:33], v[32:33], v[48:49], v[110:111] op_sel:[0,0,1] op_sel_hi:[1,0,0]
	s_waitcnt vmcnt(0) lgkmcnt(0)
	v_pk_mul_f32 v[48:49], v[112:113], v[44:45] op_sel:[0,1]
	v_mov_b32_e32 v137, v33
	v_pk_fma_f32 v[110:111], v[112:113], v[44:45], v[48:49] op_sel:[0,0,1] op_sel_hi:[1,1,0] neg_lo:[0,0,1] neg_hi:[0,0,1]
	v_pk_fma_f32 v[44:45], v[112:113], v[44:45], v[48:49] op_sel:[0,0,1] op_sel_hi:[1,0,0]
	v_mov_b32_e32 v131, v101
	v_mov_b32_e32 v111, v45
	v_pk_add_f32 v[44:45], v[42:43], v[110:111] neg_lo:[0,1] neg_hi:[0,1]
	ds_read_b64 v[48:49], v29
	ds_read_b64 v[110:111], v38
	;; [unrolled: 1-line block ×14, first 2 shown]
	v_pk_fma_f32 v[42:43], v[42:43], 2.0, v[44:45] op_sel_hi:[1,0,1] neg_lo:[0,0,1] neg_hi:[0,0,1]
	s_waitcnt lgkmcnt(0)
	s_barrier
	ds_write2st64_b64 v104, v[42:43], v[44:45] offset1:15
	v_pk_add_f32 v[42:43], v[140:141], v[120:121] neg_lo:[0,1] neg_hi:[0,1]
	v_pk_add_f32 v[10:11], v[48:49], v[114:115] neg_lo:[0,1] neg_hi:[0,1]
	v_pk_fma_f32 v[44:45], v[140:141], 2.0, v[42:43] op_sel_hi:[1,0,1] neg_lo:[0,0,1] neg_hi:[0,0,1]
	ds_write2st64_b64 v40, v[44:45], v[42:43] offset1:15
	v_pk_add_f32 v[42:43], v[112:113], v[122:123] neg_lo:[0,1] neg_hi:[0,1]
	v_pk_add_f32 v[2:3], v[160:161], v[136:137] neg_lo:[0,1] neg_hi:[0,1]
	v_pk_fma_f32 v[44:45], v[112:113], 2.0, v[42:43] op_sel_hi:[1,0,1] neg_lo:[0,0,1] neg_hi:[0,0,1]
	;; [unrolled: 4-line block ×3, first 2 shown]
	ds_write2st64_b64 v46, v[44:45], v[42:43] offset1:15
	v_pk_add_f32 v[42:43], v[142:143], v[118:119] neg_lo:[0,1] neg_hi:[0,1]
	v_pk_fma_f32 v[34:35], v[156:157], 2.0, v[32:33] op_sel_hi:[1,0,1] neg_lo:[0,0,1] neg_hi:[0,0,1]
	v_pk_fma_f32 v[44:45], v[142:143], 2.0, v[42:43] op_sel_hi:[1,0,1] neg_lo:[0,0,1] neg_hi:[0,0,1]
	ds_write2st64_b64 v22, v[44:45], v[42:43] offset1:15
	v_pk_add_f32 v[42:43], v[110:111], v[50:51] neg_lo:[0,1] neg_hi:[0,1]
	v_mov_b32_e32 v129, v103
	v_pk_fma_f32 v[44:45], v[110:111], 2.0, v[42:43] op_sel_hi:[1,0,1] neg_lo:[0,0,1] neg_hi:[0,0,1]
	ds_write2st64_b64 v38, v[44:45], v[42:43] offset1:15
	v_pk_fma_f32 v[42:43], v[48:49], 2.0, v[10:11] op_sel_hi:[1,0,1] neg_lo:[0,0,1] neg_hi:[0,0,1]
	ds_write2st64_b64 v29, v[42:43], v[10:11] offset1:15
	;; [unrolled: 2-line block ×3, first 2 shown]
	v_pk_add_f32 v[2:3], v[158:159], v[138:139] neg_lo:[0,1] neg_hi:[0,1]
	v_mov_b32_e32 v135, v107
	v_pk_fma_f32 v[10:11], v[158:159], 2.0, v[2:3] op_sel_hi:[1,0,1] neg_lo:[0,0,1] neg_hi:[0,0,1]
	ds_write2st64_b64 v104, v[10:11], v[34:35] offset0:31 offset1:33
	v_pk_add_f32 v[10:11], v[146:147], v[124:125] neg_lo:[0,1] neg_hi:[0,1]
	ds_write2st64_b64 v104, v[32:33], v[10:11] offset0:48 offset1:50
	v_pk_add_f32 v[32:33], v[148:149], v[130:131] neg_lo:[0,1] neg_hi:[0,1]
	v_pk_fma_f32 v[10:11], v[146:147], 2.0, v[10:11] op_sel_hi:[1,0,1] neg_lo:[0,0,1] neg_hi:[0,0,1]
	v_pk_fma_f32 v[34:35], v[148:149], 2.0, v[32:33] op_sel_hi:[1,0,1] neg_lo:[0,0,1] neg_hi:[0,0,1]
	ds_write2st64_b64 v104, v[10:11], v[34:35] offset0:35 offset1:37
	v_pk_add_f32 v[10:11], v[150:151], v[128:129] neg_lo:[0,1] neg_hi:[0,1]
	ds_write2st64_b64 v104, v[32:33], v[10:11] offset0:52 offset1:54
	v_pk_add_f32 v[32:33], v[152:153], v[134:135] neg_lo:[0,1] neg_hi:[0,1]
	v_pk_fma_f32 v[10:11], v[150:151], 2.0, v[10:11] op_sel_hi:[1,0,1] neg_lo:[0,0,1] neg_hi:[0,0,1]
	v_pk_fma_f32 v[34:35], v[152:153], 2.0, v[32:33] op_sel_hi:[1,0,1] neg_lo:[0,0,1] neg_hi:[0,0,1]
	v_mov_b32_e32 v133, v109
	ds_write2st64_b64 v104, v[10:11], v[34:35] offset0:39 offset1:41
	v_pk_add_f32 v[10:11], v[154:155], v[132:133] neg_lo:[0,1] neg_hi:[0,1]
	s_nop 0
	v_pk_fma_f32 v[34:35], v[154:155], 2.0, v[10:11] op_sel_hi:[1,0,1] neg_lo:[0,0,1] neg_hi:[0,0,1]
	ds_write2st64_b64 v104, v[34:35], v[2:3] offset0:43 offset1:46
	ds_write2st64_b64 v104, v[32:33], v[10:11] offset0:56 offset1:58
	v_add_co_u32_e64 v2, s[0:1], s4, v14
	s_waitcnt lgkmcnt(0)
	s_nop 0
	v_addc_co_u32_e64 v3, s[0:1], 0, v15, s[0:1]
	v_add_co_u32_e64 v10, s[0:1], s4, v12
	s_barrier
	s_nop 0
	v_addc_co_u32_e64 v11, s[0:1], 0, v13, s[0:1]
	v_add_co_u32_e64 v12, s[0:1], s4, v18
	s_nop 1
	v_addc_co_u32_e64 v13, s[0:1], 0, v19, s[0:1]
	v_add_co_u32_e64 v14, s[0:1], s4, v16
	s_nop 1
	v_addc_co_u32_e64 v15, s[0:1], 0, v17, s[0:1]
	global_load_dwordx2 v[16:17], v[10:11], off offset:2992
	global_load_dwordx2 v[18:19], v[2:3], off offset:2992
	;; [unrolled: 1-line block ×4, first 2 shown]
	v_add_co_u32_e64 v2, s[0:1], s4, v6
	v_lshl_add_u64 v[14:15], v[72:73], 3, s[8:9]
	s_nop 0
	v_addc_co_u32_e64 v3, s[0:1], 0, v7, s[0:1]
	v_add_co_u32_e64 v6, s[0:1], s4, v8
	s_nop 1
	v_addc_co_u32_e64 v7, s[0:1], 0, v9, s[0:1]
	global_load_dwordx2 v[10:11], v[2:3], off offset:2992
	global_load_dwordx2 v[12:13], v[6:7], off offset:2992
	v_lshl_add_u64 v[2:3], v[70:71], 3, s[8:9]
	v_add_co_u32_e64 v2, s[0:1], s4, v2
	v_lshl_add_u64 v[6:7], v[66:67], 3, s[8:9]
	s_nop 0
	v_addc_co_u32_e64 v3, s[0:1], 0, v3, s[0:1]
	v_add_co_u32_e64 v6, s[0:1], s4, v6
	v_lshl_add_u64 v[8:9], v[74:75], 3, s[8:9]
	s_nop 0
	v_addc_co_u32_e64 v7, s[0:1], 0, v7, s[0:1]
	v_add_co_u32_e64 v8, s[0:1], s4, v8
	s_nop 1
	v_addc_co_u32_e64 v9, s[0:1], 0, v9, s[0:1]
	v_add_co_u32_e64 v14, s[0:1], s4, v14
	s_nop 1
	v_addc_co_u32_e64 v15, s[0:1], 0, v15, s[0:1]
	global_load_dwordx2 v[36:37], v[6:7], off offset:2992
	global_load_dwordx2 v[42:43], v[2:3], off offset:2992
	;; [unrolled: 1-line block ×4, first 2 shown]
	v_lshl_add_u64 v[2:3], v[78:79], 3, s[8:9]
	v_add_co_u32_e64 v2, s[0:1], s4, v2
	v_lshl_add_u64 v[6:7], v[76:77], 3, s[8:9]
	s_nop 0
	v_addc_co_u32_e64 v3, s[0:1], 0, v3, s[0:1]
	v_add_co_u32_e64 v6, s[0:1], s4, v6
	v_lshl_add_u64 v[8:9], v[80:81], 3, s[8:9]
	s_nop 0
	v_addc_co_u32_e64 v7, s[0:1], 0, v7, s[0:1]
	global_load_dwordx2 v[14:15], v[6:7], off offset:2992
	v_add_co_u32_e64 v8, s[0:1], s4, v8
	v_lshl_add_u64 v[6:7], v[82:83], 3, s[8:9]
	s_nop 0
	v_addc_co_u32_e64 v9, s[0:1], 0, v9, s[0:1]
	global_load_dwordx2 v[50:51], v[2:3], off offset:2992
	global_load_dwordx2 v[54:55], v[8:9], off offset:2992
	v_add_co_u32_e64 v2, s[0:1], s4, v6
	s_nop 1
	v_addc_co_u32_e64 v3, s[0:1], 0, v7, s[0:1]
	global_load_dwordx2 v[56:57], v[2:3], off offset:2992
	v_add_co_u32_e64 v2, s[0:1], s4, v4
	ds_read2st64_b64 v[6:9], v104 offset0:36 offset1:38
	s_nop 0
	v_addc_co_u32_e64 v3, s[0:1], 0, v5, s[0:1]
	global_load_dwordx2 v[58:59], v[2:3], off offset:2992
	ds_read2st64_b64 v[2:5], v104 offset0:40 offset1:42
	s_add_u32 s4, s8, 0x77b0
	s_addc_u32 s5, s9, 0
	v_cmp_ne_u32_e64 s[0:1], 0, v0
	s_waitcnt vmcnt(14) lgkmcnt(0)
	v_pk_mul_f32 v[60:61], v[4:5], v[16:17] op_sel:[0,1]
	s_nop 0
	v_pk_fma_f32 v[94:95], v[4:5], v[16:17], v[60:61] op_sel:[0,0,1] op_sel_hi:[1,1,0] neg_lo:[0,0,1] neg_hi:[0,0,1]
	v_pk_fma_f32 v[16:17], v[4:5], v[16:17], v[60:61] op_sel:[0,0,1] op_sel_hi:[1,0,0]
	s_waitcnt vmcnt(13)
	v_pk_mul_f32 v[4:5], v[2:3], v[18:19] op_sel:[0,1]
	s_waitcnt vmcnt(12)
	v_pk_mul_f32 v[96:97], v[8:9], v[32:33] op_sel:[0,1]
	v_pk_fma_f32 v[60:61], v[2:3], v[18:19], v[4:5] op_sel:[0,0,1] op_sel_hi:[1,1,0] neg_lo:[0,0,1] neg_hi:[0,0,1]
	v_pk_fma_f32 v[18:19], v[2:3], v[18:19], v[4:5] op_sel:[0,0,1] op_sel_hi:[1,0,0]
	ds_read2st64_b64 v[2:5], v104 offset0:32 offset1:34
	v_pk_fma_f32 v[98:99], v[8:9], v[32:33], v[96:97] op_sel:[0,0,1] op_sel_hi:[1,1,0] neg_lo:[0,0,1] neg_hi:[0,0,1]
	v_pk_fma_f32 v[32:33], v[8:9], v[32:33], v[96:97] op_sel:[0,0,1] op_sel_hi:[1,0,0]
	s_waitcnt vmcnt(11)
	v_pk_mul_f32 v[8:9], v[6:7], v[34:35] op_sel:[0,1]
	v_mov_b32_e32 v99, v33
	v_pk_fma_f32 v[96:97], v[6:7], v[34:35], v[8:9] op_sel:[0,0,1] op_sel_hi:[1,1,0] neg_lo:[0,0,1] neg_hi:[0,0,1]
	v_pk_fma_f32 v[34:35], v[6:7], v[34:35], v[8:9] op_sel:[0,0,1] op_sel_hi:[1,0,0]
	ds_read2st64_b64 v[6:9], v104 offset0:56 offset1:58
	s_waitcnt vmcnt(10) lgkmcnt(1)
	v_pk_mul_f32 v[100:101], v[10:11], v[4:5] op_sel:[0,1]
	v_mov_b32_e32 v97, v35
	v_pk_fma_f32 v[102:103], v[10:11], v[4:5], v[100:101] op_sel:[0,0,1] op_sel_hi:[1,1,0] neg_lo:[0,0,1] neg_hi:[0,0,1]
	v_pk_fma_f32 v[10:11], v[10:11], v[4:5], v[100:101] op_sel:[0,0,1] op_sel_hi:[1,0,0]
	s_waitcnt vmcnt(9)
	v_pk_mul_f32 v[4:5], v[12:13], v[2:3] op_sel:[0,1]
	v_mov_b32_e32 v103, v11
	v_pk_fma_f32 v[100:101], v[12:13], v[2:3], v[4:5] op_sel:[0,0,1] op_sel_hi:[1,1,0] neg_lo:[0,0,1] neg_hi:[0,0,1]
	v_pk_fma_f32 v[12:13], v[12:13], v[2:3], v[4:5] op_sel:[0,0,1] op_sel_hi:[1,0,0]
	ds_read2st64_b64 v[2:5], v104 offset0:52 offset1:54
	v_mov_b32_e32 v101, v13
	v_mov_b32_e32 v61, v19
	;; [unrolled: 1-line block ×3, first 2 shown]
	s_waitcnt vmcnt(8) lgkmcnt(1)
	v_pk_mul_f32 v[106:107], v[8:9], v[36:37] op_sel:[0,1]
	s_nop 0
	v_pk_fma_f32 v[108:109], v[8:9], v[36:37], v[106:107] op_sel:[0,0,1] op_sel_hi:[1,1,0] neg_lo:[0,0,1] neg_hi:[0,0,1]
	v_pk_fma_f32 v[36:37], v[8:9], v[36:37], v[106:107] op_sel:[0,0,1] op_sel_hi:[1,0,0]
	s_waitcnt vmcnt(7)
	v_pk_mul_f32 v[8:9], v[6:7], v[42:43] op_sel:[0,1]
	s_waitcnt vmcnt(6) lgkmcnt(0)
	v_pk_mul_f32 v[110:111], v[4:5], v[44:45] op_sel:[0,1]
	v_pk_fma_f32 v[106:107], v[6:7], v[42:43], v[8:9] op_sel:[0,0,1] op_sel_hi:[1,1,0] neg_lo:[0,0,1] neg_hi:[0,0,1]
	v_pk_fma_f32 v[42:43], v[6:7], v[42:43], v[8:9] op_sel:[0,0,1] op_sel_hi:[1,0,0]
	ds_read2st64_b64 v[6:9], v104 offset0:48 offset1:50
	v_pk_fma_f32 v[112:113], v[4:5], v[44:45], v[110:111] op_sel:[0,0,1] op_sel_hi:[1,1,0] neg_lo:[0,0,1] neg_hi:[0,0,1]
	v_pk_fma_f32 v[44:45], v[4:5], v[44:45], v[110:111] op_sel:[0,0,1] op_sel_hi:[1,0,0]
	s_waitcnt vmcnt(5)
	v_pk_mul_f32 v[4:5], v[2:3], v[48:49] op_sel:[0,1]
	v_mov_b32_e32 v113, v45
	v_pk_fma_f32 v[110:111], v[2:3], v[48:49], v[4:5] op_sel:[0,0,1] op_sel_hi:[1,1,0] neg_lo:[0,0,1] neg_hi:[0,0,1]
	v_pk_fma_f32 v[48:49], v[2:3], v[48:49], v[4:5] op_sel:[0,0,1] op_sel_hi:[1,0,0]
	ds_read2st64_b64 v[2:5], v104 offset0:44 offset1:46
	s_waitcnt vmcnt(4) lgkmcnt(1)
	v_pk_mul_f32 v[114:115], v[8:9], v[14:15] op_sel:[0,1]
	v_mov_b32_e32 v111, v49
	v_pk_fma_f32 v[116:117], v[8:9], v[14:15], v[114:115] op_sel:[0,0,1] op_sel_hi:[1,1,0] neg_lo:[0,0,1] neg_hi:[0,0,1]
	v_pk_fma_f32 v[14:15], v[8:9], v[14:15], v[114:115] op_sel:[0,0,1] op_sel_hi:[1,0,0]
	v_mov_b32_e32 v109, v37
	s_waitcnt vmcnt(3)
	v_pk_mul_f32 v[8:9], v[6:7], v[50:51] op_sel:[0,1]
	s_waitcnt vmcnt(2) lgkmcnt(0)
	v_pk_mul_f32 v[118:119], v[4:5], v[54:55] op_sel:[0,1]
	v_pk_fma_f32 v[114:115], v[6:7], v[50:51], v[8:9] op_sel:[0,0,1] op_sel_hi:[1,1,0] neg_lo:[0,0,1] neg_hi:[0,0,1]
	v_pk_fma_f32 v[50:51], v[6:7], v[50:51], v[8:9] op_sel:[0,0,1] op_sel_hi:[1,0,0]
	ds_read2st64_b64 v[6:9], v104 offset1:30
	v_pk_fma_f32 v[120:121], v[4:5], v[54:55], v[118:119] op_sel:[0,0,1] op_sel_hi:[1,1,0] neg_lo:[0,0,1] neg_hi:[0,0,1]
	v_pk_fma_f32 v[4:5], v[4:5], v[54:55], v[118:119] op_sel:[0,0,1] op_sel_hi:[1,0,0]
	s_waitcnt vmcnt(1)
	v_pk_mul_f32 v[54:55], v[2:3], v[56:57] op_sel:[0,1]
	v_mov_b32_e32 v121, v5
	v_pk_fma_f32 v[118:119], v[2:3], v[56:57], v[54:55] op_sel:[0,0,1] op_sel_hi:[1,1,0] neg_lo:[0,0,1] neg_hi:[0,0,1]
	v_pk_fma_f32 v[2:3], v[2:3], v[56:57], v[54:55] op_sel:[0,0,1] op_sel_hi:[1,0,0]
	v_mov_b32_e32 v115, v51
	v_mov_b32_e32 v119, v3
	s_waitcnt vmcnt(0) lgkmcnt(0)
	v_pk_mul_f32 v[54:55], v[58:59], v[8:9] op_sel:[0,1]
	v_mov_b32_e32 v117, v15
	v_pk_fma_f32 v[56:57], v[58:59], v[8:9], v[54:55] op_sel:[0,0,1] op_sel_hi:[1,1,0] neg_lo:[0,0,1] neg_hi:[0,0,1]
	v_pk_fma_f32 v[8:9], v[58:59], v[8:9], v[54:55] op_sel:[0,0,1] op_sel_hi:[1,0,0]
	v_mov_b32_e32 v107, v43
	v_mov_b32_e32 v57, v9
	v_pk_add_f32 v[8:9], v[6:7], v[56:57] neg_lo:[0,1] neg_hi:[0,1]
	ds_read_b64 v[54:55], v29
	ds_read_b64 v[56:57], v38
	;; [unrolled: 1-line block ×14, first 2 shown]
	v_pk_fma_f32 v[6:7], v[6:7], 2.0, v[8:9] op_sel_hi:[1,0,1] neg_lo:[0,0,1] neg_hi:[0,0,1]
	s_waitcnt lgkmcnt(0)
	s_barrier
	ds_write2st64_b64 v104, v[6:7], v[8:9] offset1:30
	v_pk_add_f32 v[6:7], v[122:123], v[100:101] neg_lo:[0,1] neg_hi:[0,1]
	v_pk_add_f32 v[2:3], v[142:143], v[118:119] neg_lo:[0,1] neg_hi:[0,1]
	v_pk_fma_f32 v[8:9], v[122:123], 2.0, v[6:7] op_sel_hi:[1,0,1] neg_lo:[0,0,1] neg_hi:[0,0,1]
	ds_write2st64_b64 v40, v[8:9], v[6:7] offset1:30
	v_pk_add_f32 v[6:7], v[58:59], v[102:103] neg_lo:[0,1] neg_hi:[0,1]
	v_pk_add_f32 v[10:11], v[128:129], v[112:113] neg_lo:[0,1] neg_hi:[0,1]
	v_pk_fma_f32 v[8:9], v[58:59], 2.0, v[6:7] op_sel_hi:[1,0,1] neg_lo:[0,0,1] neg_hi:[0,0,1]
	ds_write2st64_b64 v24, v[8:9], v[6:7] offset1:30
	v_pk_add_f32 v[6:7], v[134:135], v[96:97] neg_lo:[0,1] neg_hi:[0,1]
	v_pk_fma_f32 v[12:13], v[128:129], 2.0, v[10:11] op_sel_hi:[1,0,1] neg_lo:[0,0,1] neg_hi:[0,0,1]
	v_pk_fma_f32 v[8:9], v[134:135], 2.0, v[6:7] op_sel_hi:[1,0,1] neg_lo:[0,0,1] neg_hi:[0,0,1]
	ds_write2st64_b64 v46, v[8:9], v[6:7] offset1:30
	v_pk_add_f32 v[6:7], v[132:133], v[98:99] neg_lo:[0,1] neg_hi:[0,1]
	s_nop 0
	v_pk_fma_f32 v[8:9], v[132:133], 2.0, v[6:7] op_sel_hi:[1,0,1] neg_lo:[0,0,1] neg_hi:[0,0,1]
	ds_write2st64_b64 v22, v[8:9], v[6:7] offset1:30
	v_pk_add_f32 v[6:7], v[56:57], v[60:61] neg_lo:[0,1] neg_hi:[0,1]
	s_nop 0
	;; [unrolled: 4-line block ×3, first 2 shown]
	v_pk_fma_f32 v[8:9], v[54:55], 2.0, v[6:7] op_sel_hi:[1,0,1] neg_lo:[0,0,1] neg_hi:[0,0,1]
	ds_write2st64_b64 v29, v[8:9], v[6:7] offset1:30
	v_pk_fma_f32 v[6:7], v[142:143], 2.0, v[2:3] op_sel_hi:[1,0,1] neg_lo:[0,0,1] neg_hi:[0,0,1]
	ds_write2st64_b64 v28, v[6:7], v[2:3] offset1:30
	v_pk_add_f32 v[2:3], v[140:141], v[120:121] neg_lo:[0,1] neg_hi:[0,1]
	v_pk_add_f32 v[6:7], v[126:127], v[106:107] neg_lo:[0,1] neg_hi:[0,1]
	v_pk_fma_f32 v[4:5], v[140:141], 2.0, v[2:3] op_sel_hi:[1,0,1] neg_lo:[0,0,1] neg_hi:[0,0,1]
	ds_write2st64_b64 v27, v[4:5], v[2:3] offset1:30
	v_pk_add_f32 v[2:3], v[138:139], v[114:115] neg_lo:[0,1] neg_hi:[0,1]
	v_pk_fma_f32 v[8:9], v[126:127], 2.0, v[6:7] op_sel_hi:[1,0,1] neg_lo:[0,0,1] neg_hi:[0,0,1]
	v_pk_fma_f32 v[4:5], v[138:139], 2.0, v[2:3] op_sel_hi:[1,0,1] neg_lo:[0,0,1] neg_hi:[0,0,1]
	ds_write2st64_b64 v26, v[4:5], v[2:3] offset1:30
	v_pk_add_f32 v[2:3], v[136:137], v[116:117] neg_lo:[0,1] neg_hi:[0,1]
	s_nop 0
	v_pk_fma_f32 v[4:5], v[136:137], 2.0, v[2:3] op_sel_hi:[1,0,1] neg_lo:[0,0,1] neg_hi:[0,0,1]
	ds_write2st64_b64 v30, v[4:5], v[2:3] offset1:30
	v_pk_add_f32 v[2:3], v[130:131], v[110:111] neg_lo:[0,1] neg_hi:[0,1]
	s_nop 0
	;; [unrolled: 4-line block ×3, first 2 shown]
	v_pk_fma_f32 v[4:5], v[124:125], 2.0, v[2:3] op_sel_hi:[1,0,1] neg_lo:[0,0,1] neg_hi:[0,0,1]
	ds_write2st64_b64 v23, v[12:13], v[10:11] offset1:30
	ds_write2st64_b64 v21, v[8:9], v[6:7] offset1:30
	;; [unrolled: 1-line block ×3, first 2 shown]
	s_waitcnt lgkmcnt(0)
	s_barrier
	ds_read_b64 v[6:7], v104
	v_sub_u32_e32 v8, 0, v105
                                        ; implicit-def: $vgpr2_vgpr3
                                        ; implicit-def: $vgpr5
	s_and_saveexec_b64 s[8:9], s[0:1]
	s_xor_b64 s[0:1], exec, s[8:9]
	s_cbranch_execz .LBB0_15
; %bb.14:
	v_lshl_add_u64 v[2:3], v[0:1], 3, s[4:5]
	global_load_dwordx2 v[2:3], v[2:3], off
	ds_read_b64 v[4:5], v8 offset:30720
	v_mov_b32_e32 v11, 0.5
	v_mov_b32_e32 v12, v11
	s_waitcnt lgkmcnt(0)
	v_pk_add_f32 v[14:15], v[4:5], v[6:7]
	v_pk_add_f32 v[4:5], v[6:7], v[4:5] neg_lo:[0,1] neg_hi:[0,1]
	v_mov_b32_e32 v6, v15
	v_mov_b32_e32 v7, v4
	v_pk_mul_f32 v[6:7], v[6:7], 0.5 op_sel_hi:[1,0]
	s_waitcnt vmcnt(0)
	v_mov_b32_e32 v10, v3
	v_mov_b32_e32 v4, v7
	;; [unrolled: 1-line block ×4, first 2 shown]
	v_pk_mul_f32 v[4:5], v[10:11], v[4:5]
	v_pk_mul_f32 v[16:17], v[2:3], v[6:7] op_sel_hi:[0,1]
	v_pk_fma_f32 v[10:11], v[14:15], v[12:13], v[4:5]
	v_pk_fma_f32 v[12:13], v[14:15], v[12:13], v[4:5] neg_lo:[0,0,1] neg_hi:[0,0,1]
	v_add_f32_e32 v1, v16, v10
	v_sub_f32_e32 v5, v11, v17
	ds_write_b32 v104, v1
	v_pk_fma_f32 v[2:3], v[2:3], v[6:7], v[12:13] op_sel_hi:[0,1,1] neg_lo:[1,0,0] neg_hi:[1,0,0]
                                        ; implicit-def: $vgpr6_vgpr7
.LBB0_15:
	s_or_saveexec_b64 s[0:1], s[0:1]
	v_mul_i32_i24_e32 v1, 0xffffffb8, v92
	v_mul_i32_i24_e32 v9, 0xffffffb8, v88
	s_xor_b64 exec, exec, s[0:1]
	s_cbranch_execz .LBB0_17
; %bb.16:
	s_waitcnt lgkmcnt(0)
	v_mov_b32_e32 v2, v7
	v_pk_add_f32 v[4:5], v[6:7], v[2:3] neg_lo:[0,1] neg_hi:[0,1]
	v_add_f32_e32 v3, v7, v6
	v_mov_b32_e32 v5, 0
	ds_read_b32 v2, v5 offset:15364
	ds_write_b32 v104, v3
	s_waitcnt lgkmcnt(1)
	v_xor_b32_e32 v2, 0x80000000, v2
	ds_write_b32 v5, v2 offset:15364
	v_mov_b64_e32 v[2:3], v[4:5]
.LBB0_17:
	s_or_b64 exec, exec, s[0:1]
	s_waitcnt lgkmcnt(0)
	v_lshl_add_u64 v[6:7], v[92:93], 3, s[4:5]
	global_load_dwordx2 v[6:7], v[6:7], off
	v_lshl_add_u64 v[10:11], v[88:89], 3, s[4:5]
	global_load_dwordx2 v[10:11], v[10:11], off
	;; [unrolled: 2-line block ×3, first 2 shown]
	ds_write_b32 v104, v5 offset:4
	v_lshl_add_u64 v[4:5], v[86:87], 3, s[4:5]
	global_load_dwordx2 v[4:5], v[4:5], off
	ds_write_b64 v8, v[2:3] offset:30720
	v_add_u32_e32 v1, v52, v1
	v_lshl_add_u64 v[14:15], v[68:69], 3, s[4:5]
	ds_read_b64 v[18:19], v1
	ds_read_b64 v[32:33], v8 offset:29696
	global_load_dwordx2 v[14:15], v[14:15], off
	v_mov_b32_e32 v3, 0.5
	v_mov_b32_e32 v42, v3
	v_add_u32_e32 v9, v53, v9
	s_waitcnt lgkmcnt(0)
	v_pk_add_f32 v[44:45], v[18:19], v[32:33]
	v_pk_add_f32 v[18:19], v[18:19], v[32:33] neg_lo:[0,1] neg_hi:[0,1]
	v_mov_b32_e32 v32, v45
	v_mov_b32_e32 v33, v18
	v_pk_mul_f32 v[32:33], v[32:33], 0.5 op_sel_hi:[1,0]
	v_lshl_add_u64 v[16:17], v[84:85], 3, s[4:5]
	v_mov_b32_e32 v18, v33
	v_mov_b32_e32 v45, v32
	v_lshl_add_u64 v[34:35], v[82:83], 3, s[4:5]
	v_lshl_add_u64 v[36:37], v[80:81], 3, s[4:5]
	;; [unrolled: 1-line block ×3, first 2 shown]
	s_waitcnt vmcnt(4)
	v_mov_b32_e32 v2, v7
	v_mov_b32_e32 v43, v7
	v_pk_mul_f32 v[18:19], v[2:3], v[18:19]
	s_waitcnt vmcnt(3)
	v_mov_b32_e32 v2, v11
	v_pk_fma_f32 v[48:49], v[44:45], v[42:43], v[18:19]
	v_pk_fma_f32 v[18:19], v[44:45], v[42:43], v[18:19] neg_lo:[0,0,1] neg_hi:[0,0,1]
	v_pk_fma_f32 v[42:43], v[6:7], v[32:33], v[48:49]
	v_pk_fma_f32 v[44:45], v[6:7], v[32:33], v[48:49] op_sel_hi:[0,1,1] neg_lo:[1,0,0] neg_hi:[1,0,0]
	v_mov_b32_e32 v43, v45
	v_pk_fma_f32 v[6:7], v[6:7], v[32:33], v[18:19] op_sel_hi:[0,1,1] neg_lo:[1,0,0] neg_hi:[1,0,0]
	ds_write_b64 v1, v[42:43]
	ds_write_b64 v8, v[6:7] offset:29696
	ds_read_b64 v[6:7], v9
	ds_read_b64 v[18:19], v8 offset:28672
	global_load_dwordx2 v[16:17], v[16:17], off
	v_mov_b32_e32 v32, v3
	v_mov_b32_e32 v33, v11
	s_waitcnt lgkmcnt(0)
	v_pk_add_f32 v[42:43], v[6:7], v[18:19]
	v_pk_add_f32 v[6:7], v[6:7], v[18:19] neg_lo:[0,1] neg_hi:[0,1]
	v_mov_b32_e32 v18, v43
	v_mov_b32_e32 v19, v6
	v_pk_mul_f32 v[18:19], v[18:19], 0.5 op_sel_hi:[1,0]
	s_nop 0
	v_mov_b32_e32 v6, v19
	v_mov_b32_e32 v43, v18
	v_pk_mul_f32 v[6:7], v[2:3], v[6:7]
	s_waitcnt vmcnt(3)
	v_mov_b32_e32 v2, v13
	v_pk_fma_f32 v[44:45], v[42:43], v[32:33], v[6:7]
	v_pk_fma_f32 v[6:7], v[42:43], v[32:33], v[6:7] neg_lo:[0,0,1] neg_hi:[0,0,1]
	v_pk_fma_f32 v[32:33], v[10:11], v[18:19], v[44:45]
	v_pk_fma_f32 v[42:43], v[10:11], v[18:19], v[44:45] op_sel_hi:[0,1,1] neg_lo:[1,0,0] neg_hi:[1,0,0]
	v_mov_b32_e32 v33, v43
	v_pk_fma_f32 v[6:7], v[10:11], v[18:19], v[6:7] op_sel_hi:[0,1,1] neg_lo:[1,0,0] neg_hi:[1,0,0]
	ds_write_b64 v9, v[32:33]
	ds_write_b64 v8, v[6:7] offset:28672
	ds_read_b64 v[6:7], v46
	ds_read_b64 v[10:11], v8 offset:27648
	global_load_dwordx2 v[32:33], v[34:35], off
	v_mov_b32_e32 v18, v3
	v_mov_b32_e32 v19, v13
	s_waitcnt lgkmcnt(0)
	v_pk_add_f32 v[34:35], v[6:7], v[10:11]
	v_pk_add_f32 v[6:7], v[6:7], v[10:11] neg_lo:[0,1] neg_hi:[0,1]
	v_mov_b32_e32 v10, v35
	v_mov_b32_e32 v11, v6
	v_pk_mul_f32 v[10:11], v[10:11], 0.5 op_sel_hi:[1,0]
	s_nop 0
	v_mov_b32_e32 v6, v11
	v_mov_b32_e32 v35, v10
	v_pk_mul_f32 v[6:7], v[2:3], v[6:7]
	s_waitcnt vmcnt(3)
	v_mov_b32_e32 v2, v5
	v_pk_fma_f32 v[42:43], v[34:35], v[18:19], v[6:7]
	v_pk_fma_f32 v[6:7], v[34:35], v[18:19], v[6:7] neg_lo:[0,0,1] neg_hi:[0,0,1]
	v_pk_fma_f32 v[18:19], v[12:13], v[10:11], v[42:43]
	v_pk_fma_f32 v[34:35], v[12:13], v[10:11], v[42:43] op_sel_hi:[0,1,1] neg_lo:[1,0,0] neg_hi:[1,0,0]
	v_mov_b32_e32 v19, v35
	v_pk_fma_f32 v[6:7], v[12:13], v[10:11], v[6:7] op_sel_hi:[0,1,1] neg_lo:[1,0,0] neg_hi:[1,0,0]
	ds_write_b64 v46, v[18:19]
	ds_write_b64 v8, v[6:7] offset:27648
	ds_read_b64 v[6:7], v22
	ds_read_b64 v[10:11], v8 offset:26624
	v_mov_b32_e32 v12, v3
	v_mov_b32_e32 v13, v5
	global_load_dwordx2 v[18:19], v[36:37], off
	s_waitcnt lgkmcnt(0)
	v_pk_add_f32 v[34:35], v[6:7], v[10:11]
	v_pk_add_f32 v[6:7], v[6:7], v[10:11] neg_lo:[0,1] neg_hi:[0,1]
	v_mov_b32_e32 v10, v35
	v_mov_b32_e32 v11, v6
	v_pk_mul_f32 v[10:11], v[10:11], 0.5 op_sel_hi:[1,0]
	s_nop 0
	v_mov_b32_e32 v6, v11
	v_mov_b32_e32 v35, v10
	v_pk_mul_f32 v[6:7], v[2:3], v[6:7]
	s_waitcnt vmcnt(3)
	v_mov_b32_e32 v2, v15
	v_pk_fma_f32 v[36:37], v[34:35], v[12:13], v[6:7]
	v_pk_fma_f32 v[6:7], v[34:35], v[12:13], v[6:7] neg_lo:[0,0,1] neg_hi:[0,0,1]
	v_pk_fma_f32 v[12:13], v[4:5], v[10:11], v[36:37]
	v_pk_fma_f32 v[34:35], v[4:5], v[10:11], v[36:37] op_sel_hi:[0,1,1] neg_lo:[1,0,0] neg_hi:[1,0,0]
	v_mov_b32_e32 v13, v35
	v_pk_fma_f32 v[4:5], v[4:5], v[10:11], v[6:7] op_sel_hi:[0,1,1] neg_lo:[1,0,0] neg_hi:[1,0,0]
	ds_write_b64 v22, v[12:13]
	ds_write_b64 v8, v[4:5] offset:26624
	ds_read_b64 v[4:5], v38
	ds_read_b64 v[6:7], v8 offset:25600
	v_mov_b32_e32 v12, v3
	v_mov_b32_e32 v13, v15
	v_lshl_add_u64 v[10:11], v[76:77], 3, s[4:5]
	s_waitcnt lgkmcnt(0)
	v_pk_add_f32 v[34:35], v[4:5], v[6:7]
	v_pk_add_f32 v[4:5], v[4:5], v[6:7] neg_lo:[0,1] neg_hi:[0,1]
	v_mov_b32_e32 v6, v35
	v_mov_b32_e32 v7, v4
	v_pk_mul_f32 v[6:7], v[6:7], 0.5 op_sel_hi:[1,0]
	s_nop 0
	v_mov_b32_e32 v4, v7
	v_mov_b32_e32 v35, v6
	v_pk_mul_f32 v[4:5], v[2:3], v[4:5]
	s_waitcnt vmcnt(2)
	v_mov_b32_e32 v2, v17
	v_pk_fma_f32 v[36:37], v[34:35], v[12:13], v[4:5]
	v_pk_fma_f32 v[4:5], v[34:35], v[12:13], v[4:5] neg_lo:[0,0,1] neg_hi:[0,0,1]
	v_pk_fma_f32 v[12:13], v[14:15], v[6:7], v[36:37]
	v_pk_fma_f32 v[34:35], v[14:15], v[6:7], v[36:37] op_sel_hi:[0,1,1] neg_lo:[1,0,0] neg_hi:[1,0,0]
	v_mov_b32_e32 v13, v35
	v_pk_fma_f32 v[4:5], v[14:15], v[6:7], v[4:5] op_sel_hi:[0,1,1] neg_lo:[1,0,0] neg_hi:[1,0,0]
	ds_write_b64 v38, v[12:13]
	ds_write_b64 v8, v[4:5] offset:25600
	ds_read_b64 v[4:5], v29
	ds_read_b64 v[6:7], v8 offset:24576
	global_load_dwordx2 v[14:15], v[40:41], off
	v_mov_b32_e32 v12, v3
	v_mov_b32_e32 v13, v17
	s_waitcnt lgkmcnt(0)
	v_pk_add_f32 v[34:35], v[4:5], v[6:7]
	v_pk_add_f32 v[4:5], v[4:5], v[6:7] neg_lo:[0,1] neg_hi:[0,1]
	v_mov_b32_e32 v6, v35
	v_mov_b32_e32 v7, v4
	v_pk_mul_f32 v[6:7], v[6:7], 0.5 op_sel_hi:[1,0]
	s_nop 0
	v_mov_b32_e32 v4, v7
	v_mov_b32_e32 v35, v6
	v_pk_mul_f32 v[4:5], v[2:3], v[4:5]
	s_waitcnt vmcnt(2)
	v_mov_b32_e32 v2, v33
	v_pk_fma_f32 v[36:37], v[34:35], v[12:13], v[4:5]
	v_pk_fma_f32 v[4:5], v[34:35], v[12:13], v[4:5] neg_lo:[0,0,1] neg_hi:[0,0,1]
	v_pk_fma_f32 v[12:13], v[16:17], v[6:7], v[36:37]
	v_pk_fma_f32 v[34:35], v[16:17], v[6:7], v[36:37] op_sel_hi:[0,1,1] neg_lo:[1,0,0] neg_hi:[1,0,0]
	v_mov_b32_e32 v13, v35
	v_pk_fma_f32 v[4:5], v[16:17], v[6:7], v[4:5] op_sel_hi:[0,1,1] neg_lo:[1,0,0] neg_hi:[1,0,0]
	ds_write_b64 v29, v[12:13]
	ds_write_b64 v8, v[4:5] offset:24576
	ds_read_b64 v[4:5], v28
	ds_read_b64 v[6:7], v8 offset:23552
	global_load_dwordx2 v[10:11], v[10:11], off
	v_mov_b32_e32 v12, v3
	v_mov_b32_e32 v13, v33
	s_waitcnt lgkmcnt(0)
	v_pk_add_f32 v[16:17], v[4:5], v[6:7]
	v_pk_add_f32 v[4:5], v[4:5], v[6:7] neg_lo:[0,1] neg_hi:[0,1]
	v_mov_b32_e32 v6, v17
	v_mov_b32_e32 v7, v4
	v_pk_mul_f32 v[6:7], v[6:7], 0.5 op_sel_hi:[1,0]
	s_waitcnt vmcnt(2)
	v_mov_b32_e32 v29, v19
	v_mov_b32_e32 v4, v7
	;; [unrolled: 1-line block ×3, first 2 shown]
	v_pk_mul_f32 v[4:5], v[2:3], v[4:5]
	v_mov_b32_e32 v2, v19
	v_pk_fma_f32 v[34:35], v[16:17], v[12:13], v[4:5]
	v_pk_fma_f32 v[4:5], v[16:17], v[12:13], v[4:5] neg_lo:[0,0,1] neg_hi:[0,0,1]
	v_pk_fma_f32 v[12:13], v[32:33], v[6:7], v[34:35]
	v_pk_fma_f32 v[16:17], v[32:33], v[6:7], v[34:35] op_sel_hi:[0,1,1] neg_lo:[1,0,0] neg_hi:[1,0,0]
	v_mov_b32_e32 v13, v17
	v_pk_fma_f32 v[4:5], v[32:33], v[6:7], v[4:5] op_sel_hi:[0,1,1] neg_lo:[1,0,0] neg_hi:[1,0,0]
	ds_write_b64 v28, v[12:13]
	ds_write_b64 v8, v[4:5] offset:23552
	v_lshl_add_u64 v[16:17], v[74:75], 3, s[4:5]
	ds_read_b64 v[4:5], v27
	ds_read_b64 v[6:7], v8 offset:22528
	global_load_dwordx2 v[16:17], v[16:17], off
	v_mov_b32_e32 v28, v3
	s_waitcnt lgkmcnt(0)
	v_pk_add_f32 v[12:13], v[4:5], v[6:7]
	v_pk_add_f32 v[4:5], v[4:5], v[6:7] neg_lo:[0,1] neg_hi:[0,1]
	v_mov_b32_e32 v6, v13
	v_mov_b32_e32 v7, v4
	v_pk_mul_f32 v[6:7], v[6:7], 0.5 op_sel_hi:[1,0]
	s_nop 0
	v_mov_b32_e32 v4, v7
	v_pk_mul_f32 v[4:5], v[2:3], v[4:5]
	v_mov_b32_e32 v13, v6
	v_pk_fma_f32 v[32:33], v[12:13], v[28:29], v[4:5]
	v_pk_fma_f32 v[4:5], v[12:13], v[28:29], v[4:5] neg_lo:[0,0,1] neg_hi:[0,0,1]
	v_pk_fma_f32 v[34:35], v[18:19], v[6:7], v[32:33]
	v_pk_fma_f32 v[32:33], v[18:19], v[6:7], v[32:33] op_sel_hi:[0,1,1] neg_lo:[1,0,0] neg_hi:[1,0,0]
	v_mov_b32_e32 v35, v33
	v_pk_fma_f32 v[4:5], v[18:19], v[6:7], v[4:5] op_sel_hi:[0,1,1] neg_lo:[1,0,0] neg_hi:[1,0,0]
	ds_write_b64 v27, v[34:35]
	ds_write_b64 v8, v[4:5] offset:22528
	v_lshl_add_u64 v[18:19], v[72:73], 3, s[4:5]
	ds_read_b64 v[4:5], v26
	ds_read_b64 v[6:7], v8 offset:21504
	global_load_dwordx2 v[18:19], v[18:19], off
	s_waitcnt lgkmcnt(0)
	v_pk_add_f32 v[12:13], v[4:5], v[6:7]
	v_pk_add_f32 v[4:5], v[4:5], v[6:7] neg_lo:[0,1] neg_hi:[0,1]
	v_mov_b32_e32 v6, v13
	v_mov_b32_e32 v7, v4
	v_pk_mul_f32 v[6:7], v[6:7], 0.5 op_sel_hi:[1,0]
	s_waitcnt vmcnt(3)
	v_mov_b32_e32 v2, v15
	v_mov_b32_e32 v4, v7
	v_pk_mul_f32 v[4:5], v[2:3], v[4:5]
	v_mov_b32_e32 v13, v6
	v_mov_b32_e32 v29, v15
	v_pk_fma_f32 v[32:33], v[12:13], v[28:29], v[4:5]
	v_pk_fma_f32 v[4:5], v[12:13], v[28:29], v[4:5] neg_lo:[0,0,1] neg_hi:[0,0,1]
	v_pk_fma_f32 v[34:35], v[14:15], v[6:7], v[32:33]
	v_pk_fma_f32 v[32:33], v[14:15], v[6:7], v[32:33] op_sel_hi:[0,1,1] neg_lo:[1,0,0] neg_hi:[1,0,0]
	v_mov_b32_e32 v35, v33
	v_pk_fma_f32 v[4:5], v[14:15], v[6:7], v[4:5] op_sel_hi:[0,1,1] neg_lo:[1,0,0] neg_hi:[1,0,0]
	ds_write_b64 v26, v[34:35]
	ds_write_b64 v8, v[4:5] offset:21504
	v_lshl_add_u64 v[14:15], v[70:71], 3, s[4:5]
	ds_read_b64 v[4:5], v30
	ds_read_b64 v[6:7], v8 offset:20480
	global_load_dwordx2 v[14:15], v[14:15], off
	v_mov_b32_e32 v26, v3
	s_waitcnt lgkmcnt(0)
	v_pk_add_f32 v[12:13], v[4:5], v[6:7]
	v_pk_add_f32 v[4:5], v[4:5], v[6:7] neg_lo:[0,1] neg_hi:[0,1]
	v_mov_b32_e32 v6, v13
	v_mov_b32_e32 v7, v4
	v_pk_mul_f32 v[6:7], v[6:7], 0.5 op_sel_hi:[1,0]
	s_waitcnt vmcnt(3)
	v_mov_b32_e32 v2, v11
	v_mov_b32_e32 v4, v7
	v_pk_mul_f32 v[4:5], v[2:3], v[4:5]
	v_mov_b32_e32 v13, v6
	v_mov_b32_e32 v27, v11
	v_pk_fma_f32 v[28:29], v[12:13], v[26:27], v[4:5]
	v_pk_fma_f32 v[4:5], v[12:13], v[26:27], v[4:5] neg_lo:[0,0,1] neg_hi:[0,0,1]
	v_pk_fma_f32 v[32:33], v[10:11], v[6:7], v[28:29]
	v_pk_fma_f32 v[28:29], v[10:11], v[6:7], v[28:29] op_sel_hi:[0,1,1] neg_lo:[1,0,0] neg_hi:[1,0,0]
	v_mov_b32_e32 v33, v29
	v_pk_fma_f32 v[4:5], v[10:11], v[6:7], v[4:5] op_sel_hi:[0,1,1] neg_lo:[1,0,0] neg_hi:[1,0,0]
	ds_write_b64 v30, v[32:33]
	ds_write_b64 v8, v[4:5] offset:20480
	v_lshl_add_u64 v[12:13], v[66:67], 3, s[4:5]
	ds_read_b64 v[4:5], v25
	ds_read_b64 v[6:7], v8 offset:19456
	global_load_dwordx2 v[12:13], v[12:13], off
	s_waitcnt lgkmcnt(0)
	v_pk_add_f32 v[10:11], v[4:5], v[6:7]
	v_pk_add_f32 v[4:5], v[4:5], v[6:7] neg_lo:[0,1] neg_hi:[0,1]
	v_mov_b32_e32 v6, v11
	v_mov_b32_e32 v7, v4
	v_pk_mul_f32 v[6:7], v[6:7], 0.5 op_sel_hi:[1,0]
	s_waitcnt vmcnt(3)
	v_mov_b32_e32 v2, v17
	v_mov_b32_e32 v4, v7
	v_pk_mul_f32 v[4:5], v[2:3], v[4:5]
	v_mov_b32_e32 v11, v6
	v_mov_b32_e32 v27, v17
	v_pk_fma_f32 v[28:29], v[10:11], v[26:27], v[4:5]
	v_pk_fma_f32 v[4:5], v[10:11], v[26:27], v[4:5] neg_lo:[0,0,1] neg_hi:[0,0,1]
	v_pk_fma_f32 v[30:31], v[16:17], v[6:7], v[28:29]
	v_pk_fma_f32 v[28:29], v[16:17], v[6:7], v[28:29] op_sel_hi:[0,1,1] neg_lo:[1,0,0] neg_hi:[1,0,0]
	v_mov_b32_e32 v31, v29
	v_pk_fma_f32 v[4:5], v[16:17], v[6:7], v[4:5] op_sel_hi:[0,1,1] neg_lo:[1,0,0] neg_hi:[1,0,0]
	ds_write_b64 v25, v[30:31]
	ds_write_b64 v8, v[4:5] offset:19456
	ds_read_b64 v[4:5], v23
	ds_read_b64 v[6:7], v8 offset:18432
	v_mov_b32_e32 v16, v3
	s_waitcnt lgkmcnt(0)
	v_pk_add_f32 v[10:11], v[4:5], v[6:7]
	v_pk_add_f32 v[4:5], v[4:5], v[6:7] neg_lo:[0,1] neg_hi:[0,1]
	v_mov_b32_e32 v6, v11
	v_mov_b32_e32 v7, v4
	v_pk_mul_f32 v[6:7], v[6:7], 0.5 op_sel_hi:[1,0]
	s_waitcnt vmcnt(2)
	v_mov_b32_e32 v2, v19
	v_mov_b32_e32 v4, v7
	v_pk_mul_f32 v[4:5], v[2:3], v[4:5]
	v_mov_b32_e32 v11, v6
	v_mov_b32_e32 v17, v19
	v_pk_fma_f32 v[24:25], v[10:11], v[16:17], v[4:5]
	v_pk_fma_f32 v[4:5], v[10:11], v[16:17], v[4:5] neg_lo:[0,0,1] neg_hi:[0,0,1]
	v_pk_fma_f32 v[26:27], v[18:19], v[6:7], v[24:25]
	v_pk_fma_f32 v[24:25], v[18:19], v[6:7], v[24:25] op_sel_hi:[0,1,1] neg_lo:[1,0,0] neg_hi:[1,0,0]
	v_mov_b32_e32 v27, v25
	v_pk_fma_f32 v[4:5], v[18:19], v[6:7], v[4:5] op_sel_hi:[0,1,1] neg_lo:[1,0,0] neg_hi:[1,0,0]
	ds_write_b64 v23, v[26:27]
	ds_write_b64 v8, v[4:5] offset:18432
	ds_read_b64 v[4:5], v21
	ds_read_b64 v[6:7], v8 offset:17408
	s_waitcnt lgkmcnt(0)
	v_pk_add_f32 v[10:11], v[4:5], v[6:7]
	v_pk_add_f32 v[4:5], v[4:5], v[6:7] neg_lo:[0,1] neg_hi:[0,1]
	v_mov_b32_e32 v6, v11
	v_mov_b32_e32 v7, v4
	v_pk_mul_f32 v[6:7], v[6:7], 0.5 op_sel_hi:[1,0]
	s_waitcnt vmcnt(1)
	v_mov_b32_e32 v2, v15
	v_mov_b32_e32 v4, v7
	v_pk_mul_f32 v[4:5], v[2:3], v[4:5]
	v_mov_b32_e32 v11, v6
	v_mov_b32_e32 v17, v15
	v_pk_fma_f32 v[18:19], v[10:11], v[16:17], v[4:5]
	v_pk_fma_f32 v[4:5], v[10:11], v[16:17], v[4:5] neg_lo:[0,0,1] neg_hi:[0,0,1]
	v_pk_fma_f32 v[22:23], v[14:15], v[6:7], v[18:19]
	v_pk_fma_f32 v[18:19], v[14:15], v[6:7], v[18:19] op_sel_hi:[0,1,1] neg_lo:[1,0,0] neg_hi:[1,0,0]
	v_mov_b32_e32 v23, v19
	v_pk_fma_f32 v[4:5], v[14:15], v[6:7], v[4:5] op_sel_hi:[0,1,1] neg_lo:[1,0,0] neg_hi:[1,0,0]
	ds_write_b64 v21, v[22:23]
	ds_write_b64 v8, v[4:5] offset:17408
	ds_read_b64 v[4:5], v20
	ds_read_b64 v[6:7], v8 offset:16384
	s_waitcnt lgkmcnt(0)
	v_pk_add_f32 v[10:11], v[4:5], v[6:7]
	v_pk_add_f32 v[4:5], v[4:5], v[6:7] neg_lo:[0,1] neg_hi:[0,1]
	v_mov_b32_e32 v6, v11
	v_mov_b32_e32 v7, v4
	v_pk_mul_f32 v[6:7], v[6:7], 0.5 op_sel_hi:[1,0]
	s_waitcnt vmcnt(0)
	v_mov_b32_e32 v2, v13
	v_mov_b32_e32 v4, v7
	v_pk_mul_f32 v[4:5], v[2:3], v[4:5]
	v_mov_b32_e32 v11, v6
	v_mov_b32_e32 v2, v3
	;; [unrolled: 1-line block ×3, first 2 shown]
	v_pk_fma_f32 v[14:15], v[10:11], v[2:3], v[4:5]
	v_pk_fma_f32 v[2:3], v[10:11], v[2:3], v[4:5] neg_lo:[0,0,1] neg_hi:[0,0,1]
	v_pk_fma_f32 v[16:17], v[12:13], v[6:7], v[14:15]
	v_pk_fma_f32 v[14:15], v[12:13], v[6:7], v[14:15] op_sel_hi:[0,1,1] neg_lo:[1,0,0] neg_hi:[1,0,0]
	v_mov_b32_e32 v17, v15
	v_pk_fma_f32 v[2:3], v[12:13], v[6:7], v[2:3] op_sel_hi:[0,1,1] neg_lo:[1,0,0] neg_hi:[1,0,0]
	ds_write_b64 v20, v[16:17]
	ds_write_b64 v8, v[2:3] offset:16384
	s_waitcnt lgkmcnt(0)
	s_barrier
	s_and_saveexec_b64 s[0:1], vcc
	s_cbranch_execz .LBB0_20
; %bb.18:
	v_mul_lo_u32 v1, s3, v64
	v_mul_lo_u32 v4, s2, v65
	v_mad_u64_u32 v[2:3], s[0:1], s2, v64, 0
	v_lshl_add_u32 v12, v0, 3, 0
	v_add3_u32 v3, v3, v4, v1
	ds_read2st64_b64 v[4:7], v12 offset1:2
	v_lshl_add_u64 v[2:3], v[2:3], 3, s[6:7]
	v_mov_b32_e32 v1, 0
	v_lshl_add_u64 v[2:3], v[62:63], 3, v[2:3]
	v_lshl_add_u64 v[8:9], v[0:1], 3, v[2:3]
	s_waitcnt lgkmcnt(0)
	global_store_dwordx2 v[8:9], v[4:5], off
	ds_read2st64_b64 v[8:11], v12 offset0:4 offset1:6
	v_add_u32_e32 v4, 0x80, v0
	v_mov_b32_e32 v5, v1
	v_lshl_add_u64 v[4:5], v[4:5], 3, v[2:3]
	global_store_dwordx2 v[4:5], v[6:7], off
	v_add_u32_e32 v4, 0x100, v0
	v_mov_b32_e32 v5, v1
	v_lshl_add_u64 v[4:5], v[4:5], 3, v[2:3]
	s_waitcnt lgkmcnt(0)
	global_store_dwordx2 v[4:5], v[8:9], off
	v_add_u32_e32 v4, 0x180, v0
	v_mov_b32_e32 v5, v1
	v_lshl_add_u64 v[8:9], v[4:5], 3, v[2:3]
	ds_read2st64_b64 v[4:7], v12 offset0:8 offset1:10
	global_store_dwordx2 v[8:9], v[10:11], off
	v_add_u32_e32 v8, 0x200, v0
	v_mov_b32_e32 v9, v1
	v_lshl_add_u64 v[8:9], v[8:9], 3, v[2:3]
	s_waitcnt lgkmcnt(0)
	global_store_dwordx2 v[8:9], v[4:5], off
	ds_read2st64_b64 v[8:11], v12 offset0:12 offset1:14
	v_add_u32_e32 v4, 0x280, v0
	v_mov_b32_e32 v5, v1
	v_lshl_add_u64 v[4:5], v[4:5], 3, v[2:3]
	global_store_dwordx2 v[4:5], v[6:7], off
	v_add_u32_e32 v4, 0x300, v0
	v_mov_b32_e32 v5, v1
	v_lshl_add_u64 v[4:5], v[4:5], 3, v[2:3]
	s_waitcnt lgkmcnt(0)
	global_store_dwordx2 v[4:5], v[8:9], off
	v_add_u32_e32 v4, 0x380, v0
	v_mov_b32_e32 v5, v1
	v_lshl_add_u64 v[8:9], v[4:5], 3, v[2:3]
	ds_read2st64_b64 v[4:7], v12 offset0:16 offset1:18
	global_store_dwordx2 v[8:9], v[10:11], off
	v_add_u32_e32 v8, 0x400, v0
	v_mov_b32_e32 v9, v1
	;; [unrolled: 20-line block ×7, first 2 shown]
	v_lshl_add_u64 v[8:9], v[8:9], 3, v[2:3]
	s_waitcnt lgkmcnt(0)
	global_store_dwordx2 v[8:9], v[4:5], off
	v_add_u32_e32 v4, 0xe80, v0
	v_mov_b32_e32 v5, v1
	s_movk_i32 s0, 0x7f
	v_lshl_add_u64 v[4:5], v[4:5], 3, v[2:3]
	v_cmp_eq_u32_e32 vcc, s0, v0
	global_store_dwordx2 v[4:5], v[6:7], off
	s_and_b64 exec, exec, vcc
	s_cbranch_execz .LBB0_20
; %bb.19:
	ds_read_b64 v[0:1], v1 offset:30720
	v_add_co_u32_e32 v2, vcc, 0x7000, v2
	s_nop 1
	v_addc_co_u32_e32 v3, vcc, 0, v3, vcc
	s_waitcnt lgkmcnt(0)
	global_store_dwordx2 v[2:3], v[0:1], off offset:2048
.LBB0_20:
	s_endpgm
	.section	.rodata,"a",@progbits
	.p2align	6, 0x0
	.amdhsa_kernel fft_rtc_fwd_len3840_factors_10_6_2_2_2_2_2_2_wgs_128_tpt_128_halfLds_sp_op_CI_CI_unitstride_sbrr_R2C_dirReg
		.amdhsa_group_segment_fixed_size 0
		.amdhsa_private_segment_fixed_size 0
		.amdhsa_kernarg_size 104
		.amdhsa_user_sgpr_count 2
		.amdhsa_user_sgpr_dispatch_ptr 0
		.amdhsa_user_sgpr_queue_ptr 0
		.amdhsa_user_sgpr_kernarg_segment_ptr 1
		.amdhsa_user_sgpr_dispatch_id 0
		.amdhsa_user_sgpr_kernarg_preload_length 0
		.amdhsa_user_sgpr_kernarg_preload_offset 0
		.amdhsa_user_sgpr_private_segment_size 0
		.amdhsa_uses_dynamic_stack 0
		.amdhsa_enable_private_segment 0
		.amdhsa_system_sgpr_workgroup_id_x 1
		.amdhsa_system_sgpr_workgroup_id_y 0
		.amdhsa_system_sgpr_workgroup_id_z 0
		.amdhsa_system_sgpr_workgroup_info 0
		.amdhsa_system_vgpr_workitem_id 0
		.amdhsa_next_free_vgpr 193
		.amdhsa_next_free_sgpr 28
		.amdhsa_accum_offset 196
		.amdhsa_reserve_vcc 1
		.amdhsa_float_round_mode_32 0
		.amdhsa_float_round_mode_16_64 0
		.amdhsa_float_denorm_mode_32 3
		.amdhsa_float_denorm_mode_16_64 3
		.amdhsa_dx10_clamp 1
		.amdhsa_ieee_mode 1
		.amdhsa_fp16_overflow 0
		.amdhsa_tg_split 0
		.amdhsa_exception_fp_ieee_invalid_op 0
		.amdhsa_exception_fp_denorm_src 0
		.amdhsa_exception_fp_ieee_div_zero 0
		.amdhsa_exception_fp_ieee_overflow 0
		.amdhsa_exception_fp_ieee_underflow 0
		.amdhsa_exception_fp_ieee_inexact 0
		.amdhsa_exception_int_div_zero 0
	.end_amdhsa_kernel
	.text
.Lfunc_end0:
	.size	fft_rtc_fwd_len3840_factors_10_6_2_2_2_2_2_2_wgs_128_tpt_128_halfLds_sp_op_CI_CI_unitstride_sbrr_R2C_dirReg, .Lfunc_end0-fft_rtc_fwd_len3840_factors_10_6_2_2_2_2_2_2_wgs_128_tpt_128_halfLds_sp_op_CI_CI_unitstride_sbrr_R2C_dirReg
                                        ; -- End function
	.section	.AMDGPU.csdata,"",@progbits
; Kernel info:
; codeLenInByte = 21784
; NumSgprs: 34
; NumVgprs: 193
; NumAgprs: 0
; TotalNumVgprs: 193
; ScratchSize: 0
; MemoryBound: 0
; FloatMode: 240
; IeeeMode: 1
; LDSByteSize: 0 bytes/workgroup (compile time only)
; SGPRBlocks: 4
; VGPRBlocks: 24
; NumSGPRsForWavesPerEU: 34
; NumVGPRsForWavesPerEU: 193
; AccumOffset: 196
; Occupancy: 2
; WaveLimiterHint : 1
; COMPUTE_PGM_RSRC2:SCRATCH_EN: 0
; COMPUTE_PGM_RSRC2:USER_SGPR: 2
; COMPUTE_PGM_RSRC2:TRAP_HANDLER: 0
; COMPUTE_PGM_RSRC2:TGID_X_EN: 1
; COMPUTE_PGM_RSRC2:TGID_Y_EN: 0
; COMPUTE_PGM_RSRC2:TGID_Z_EN: 0
; COMPUTE_PGM_RSRC2:TIDIG_COMP_CNT: 0
; COMPUTE_PGM_RSRC3_GFX90A:ACCUM_OFFSET: 48
; COMPUTE_PGM_RSRC3_GFX90A:TG_SPLIT: 0
	.text
	.p2alignl 6, 3212836864
	.fill 256, 4, 3212836864
	.type	__hip_cuid_57d5ece13698bb66,@object ; @__hip_cuid_57d5ece13698bb66
	.section	.bss,"aw",@nobits
	.globl	__hip_cuid_57d5ece13698bb66
__hip_cuid_57d5ece13698bb66:
	.byte	0                               ; 0x0
	.size	__hip_cuid_57d5ece13698bb66, 1

	.ident	"AMD clang version 19.0.0git (https://github.com/RadeonOpenCompute/llvm-project roc-6.4.0 25133 c7fe45cf4b819c5991fe208aaa96edf142730f1d)"
	.section	".note.GNU-stack","",@progbits
	.addrsig
	.addrsig_sym __hip_cuid_57d5ece13698bb66
	.amdgpu_metadata
---
amdhsa.kernels:
  - .agpr_count:     0
    .args:
      - .actual_access:  read_only
        .address_space:  global
        .offset:         0
        .size:           8
        .value_kind:     global_buffer
      - .offset:         8
        .size:           8
        .value_kind:     by_value
      - .actual_access:  read_only
        .address_space:  global
        .offset:         16
        .size:           8
        .value_kind:     global_buffer
      - .actual_access:  read_only
        .address_space:  global
        .offset:         24
        .size:           8
        .value_kind:     global_buffer
      - .actual_access:  read_only
        .address_space:  global
        .offset:         32
        .size:           8
        .value_kind:     global_buffer
      - .offset:         40
        .size:           8
        .value_kind:     by_value
      - .actual_access:  read_only
        .address_space:  global
        .offset:         48
        .size:           8
        .value_kind:     global_buffer
      - .actual_access:  read_only
        .address_space:  global
        .offset:         56
        .size:           8
        .value_kind:     global_buffer
      - .offset:         64
        .size:           4
        .value_kind:     by_value
      - .actual_access:  read_only
        .address_space:  global
        .offset:         72
        .size:           8
        .value_kind:     global_buffer
      - .actual_access:  read_only
        .address_space:  global
        .offset:         80
        .size:           8
        .value_kind:     global_buffer
      - .actual_access:  read_only
        .address_space:  global
        .offset:         88
        .size:           8
        .value_kind:     global_buffer
      - .actual_access:  write_only
        .address_space:  global
        .offset:         96
        .size:           8
        .value_kind:     global_buffer
    .group_segment_fixed_size: 0
    .kernarg_segment_align: 8
    .kernarg_segment_size: 104
    .language:       OpenCL C
    .language_version:
      - 2
      - 0
    .max_flat_workgroup_size: 128
    .name:           fft_rtc_fwd_len3840_factors_10_6_2_2_2_2_2_2_wgs_128_tpt_128_halfLds_sp_op_CI_CI_unitstride_sbrr_R2C_dirReg
    .private_segment_fixed_size: 0
    .sgpr_count:     34
    .sgpr_spill_count: 0
    .symbol:         fft_rtc_fwd_len3840_factors_10_6_2_2_2_2_2_2_wgs_128_tpt_128_halfLds_sp_op_CI_CI_unitstride_sbrr_R2C_dirReg.kd
    .uniform_work_group_size: 1
    .uses_dynamic_stack: false
    .vgpr_count:     193
    .vgpr_spill_count: 0
    .wavefront_size: 64
amdhsa.target:   amdgcn-amd-amdhsa--gfx950
amdhsa.version:
  - 1
  - 2
...

	.end_amdgpu_metadata
